;; amdgpu-corpus repo=ROCm/rocFFT kind=compiled arch=gfx1100 opt=O3
	.text
	.amdgcn_target "amdgcn-amd-amdhsa--gfx1100"
	.amdhsa_code_object_version 6
	.protected	bluestein_single_fwd_len2250_dim1_dp_op_CI_CI ; -- Begin function bluestein_single_fwd_len2250_dim1_dp_op_CI_CI
	.globl	bluestein_single_fwd_len2250_dim1_dp_op_CI_CI
	.p2align	8
	.type	bluestein_single_fwd_len2250_dim1_dp_op_CI_CI,@function
bluestein_single_fwd_len2250_dim1_dp_op_CI_CI: ; @bluestein_single_fwd_len2250_dim1_dp_op_CI_CI
; %bb.0:
	s_load_b128 s[8:11], s[0:1], 0x28
	v_mul_u32_u24_e32 v1, 0x2d9, v0
	s_mov_b32 s2, exec_lo
	v_mov_b32_e32 v8, 0
	s_delay_alu instid0(VALU_DEP_2) | instskip(NEXT) | instid1(VALU_DEP_1)
	v_lshrrev_b32_e32 v1, 16, v1
	v_add_nc_u32_e32 v7, s15, v1
	s_waitcnt lgkmcnt(0)
	s_delay_alu instid0(VALU_DEP_1)
	v_cmpx_gt_u64_e64 s[8:9], v[7:8]
	s_cbranch_execz .LBB0_31
; %bb.1:
	s_clause 0x1
	s_load_b128 s[4:7], s[0:1], 0x18
	s_load_b64 s[2:3], s[0:1], 0x0
	v_mul_lo_u16 v1, 0x5a, v1
	v_mov_b32_e32 v5, v7
	s_delay_alu instid0(VALU_DEP_2) | instskip(NEXT) | instid1(VALU_DEP_1)
	v_sub_nc_u16 v2, v0, v1
	v_and_b32_e32 v147, 0xffff, v2
	s_delay_alu instid0(VALU_DEP_1)
	v_lshlrev_b32_e32 v192, 4, v147
	s_waitcnt lgkmcnt(0)
	s_load_b128 s[12:15], s[4:5], 0x0
	s_clause 0x2
	global_load_b128 v[115:118], v192, s[2:3] offset:3600
	global_load_b128 v[119:122], v192, s[2:3]
	global_load_b128 v[148:151], v192, s[2:3] offset:1440
	v_add_co_u32 v81, s4, s2, v192
	s_delay_alu instid0(VALU_DEP_1) | instskip(NEXT) | instid1(VALU_DEP_2)
	v_add_co_ci_u32_e64 v82, null, s3, 0, s4
	v_add_co_u32 v53, vcc_lo, 0x1000, v81
	s_delay_alu instid0(VALU_DEP_2)
	v_add_co_ci_u32_e32 v54, vcc_lo, 0, v82, vcc_lo
	v_add_co_u32 v61, vcc_lo, 0x2000, v81
	v_add_co_ci_u32_e32 v62, vcc_lo, 0, v82, vcc_lo
	s_clause 0x1
	global_load_b128 v[123:126], v[53:54], off offset:3104
	global_load_b128 v[141:144], v[61:62], off offset:2608
	scratch_store_b64 off, v[5:6], off offset:76 ; 8-byte Folded Spill
	s_waitcnt lgkmcnt(0)
	v_mad_u64_u32 v[0:1], null, s14, v7, 0
	v_mad_u64_u32 v[3:4], null, s12, v147, 0
	v_add_co_u32 v65, vcc_lo, 0x3000, v81
	v_add_co_ci_u32_e32 v66, vcc_lo, 0, v82, vcc_lo
	s_delay_alu instid0(VALU_DEP_4) | instskip(SKIP_3) | instid1(VALU_DEP_4)
	v_mad_u64_u32 v[5:6], null, s15, v7, v[1:2]
	v_add_co_u32 v67, vcc_lo, 0x4000, v81
	v_add_co_ci_u32_e32 v68, vcc_lo, 0, v82, vcc_lo
	v_add_co_u32 v71, vcc_lo, 0x5000, v81
	v_mad_u64_u32 v[6:7], null, s13, v147, v[4:5]
	v_mov_b32_e32 v1, v5
	v_add_co_ci_u32_e32 v72, vcc_lo, 0, v82, vcc_lo
	v_add_co_u32 v77, vcc_lo, 0x6000, v81
	s_delay_alu instid0(VALU_DEP_3) | instskip(SKIP_4) | instid1(VALU_DEP_4)
	v_lshlrev_b64 v[0:1], 4, v[0:1]
	v_mov_b32_e32 v4, v6
	v_add_co_ci_u32_e32 v78, vcc_lo, 0, v82, vcc_lo
	v_add_co_u32 v79, vcc_lo, 0x7000, v81
	v_add_co_ci_u32_e32 v80, vcc_lo, 0, v82, vcc_lo
	v_lshlrev_b64 v[3:4], 4, v[3:4]
	v_add_co_u32 v0, vcc_lo, s10, v0
	v_add_co_ci_u32_e32 v1, vcc_lo, s11, v1, vcc_lo
	s_mul_i32 s3, s13, 0xe1
	s_mul_hi_u32 s5, s12, 0xe1
	s_delay_alu instid0(VALU_DEP_2)
	v_add_co_u32 v0, vcc_lo, v0, v3
	s_mul_i32 s2, s12, 0xe1
	s_add_i32 s3, s5, s3
	v_add_co_ci_u32_e32 v1, vcc_lo, v1, v4, vcc_lo
	s_lshl_b64 s[10:11], s[2:3], 4
	s_clause 0x1
	global_load_b128 v[180:183], v[67:68], off offset:1616
	global_load_b128 v[164:167], v[71:72], off offset:1120
	v_add_co_u32 v7, vcc_lo, v0, s10
	v_add_co_ci_u32_e32 v8, vcc_lo, s11, v1, vcc_lo
	s_clause 0x2
	global_load_b128 v[160:163], v[77:78], off offset:624
	global_load_b128 v[156:159], v[79:80], off offset:128
	;; [unrolled: 1-line block ×3, first 2 shown]
	v_add_co_u32 v11, vcc_lo, v7, s10
	v_add_co_ci_u32_e32 v12, vcc_lo, s11, v8, vcc_lo
	s_clause 0x1
	global_load_b128 v[3:6], v[0:1], off
	global_load_b128 v[7:10], v[7:8], off
	v_add_co_u32 v15, vcc_lo, v11, s10
	v_add_co_ci_u32_e32 v16, vcc_lo, s11, v12, vcc_lo
	s_mul_hi_u32 s9, s12, 0xfffff871
	s_delay_alu instid0(VALU_DEP_2) | instskip(NEXT) | instid1(VALU_DEP_2)
	v_add_co_u32 v19, vcc_lo, v15, s10
	v_add_co_ci_u32_e32 v20, vcc_lo, s11, v16, vcc_lo
	s_clause 0x1
	global_load_b128 v[11:14], v[11:12], off
	global_load_b128 v[15:18], v[15:16], off
	v_add_co_u32 v0, vcc_lo, v19, s10
	v_add_co_ci_u32_e32 v1, vcc_lo, s11, v20, vcc_lo
	s_mul_i32 s8, s13, 0xfffff871
	s_delay_alu instid0(VALU_DEP_2) | instskip(NEXT) | instid1(VALU_DEP_2)
	v_add_co_u32 v27, vcc_lo, v0, s10
	v_add_co_ci_u32_e32 v28, vcc_lo, s11, v1, vcc_lo
	global_load_b128 v[23:26], v[0:1], off
	v_add_co_u32 v31, vcc_lo, v27, s10
	v_add_co_ci_u32_e32 v32, vcc_lo, s11, v28, vcc_lo
	s_sub_i32 s2, s9, s12
	s_delay_alu instid0(VALU_DEP_2) | instskip(NEXT) | instid1(VALU_DEP_2)
	v_add_co_u32 v0, vcc_lo, v31, s10
	v_add_co_ci_u32_e32 v1, vcc_lo, s11, v32, vcc_lo
	s_mul_i32 s4, s12, 0xfffff871
	s_delay_alu instid0(VALU_DEP_2) | instskip(SKIP_1) | instid1(VALU_DEP_2)
	v_add_co_u32 v39, vcc_lo, v0, s10
	s_add_i32 s5, s2, s8
	v_add_co_ci_u32_e32 v40, vcc_lo, s11, v1, vcc_lo
	s_lshl_b64 s[2:3], s[4:5], 4
	global_load_b128 v[35:38], v[0:1], off
	v_add_co_u32 v43, vcc_lo, v39, s2
	v_add_co_ci_u32_e32 v44, vcc_lo, s3, v40, vcc_lo
	scratch_store_b64 off, v[53:54], off offset:68 ; 8-byte Folded Spill
	v_add_co_u32 v0, vcc_lo, v43, s10
	v_add_co_ci_u32_e32 v1, vcc_lo, s11, v44, vcc_lo
	global_load_b128 v[19:22], v[19:20], off
	v_add_co_u32 v51, vcc_lo, v0, s10
	v_add_co_ci_u32_e32 v52, vcc_lo, s11, v1, vcc_lo
	global_load_b128 v[47:50], v[0:1], off
	;; [unrolled: 3-line block ×5, first 2 shown]
	global_load_b128 v[43:46], v[43:44], off
	global_load_b128 v[176:179], v[53:54], off offset:944
	global_load_b128 v[51:54], v[51:52], off
	global_load_b128 v[168:171], v[61:62], off offset:448
	global_load_b128 v[55:58], v[59:60], off
	s_clause 0x1
	global_load_b128 v[209:212], v[65:66], off offset:2112
	global_load_b128 v[172:175], v[61:62], off offset:4048
	s_clause 0x2
	scratch_store_b64 off, v[61:62], off offset:60
	scratch_store_b64 off, v[65:66], off offset:52
	;; [unrolled: 1-line block ×3, first 2 shown]
	global_load_b128 v[59:62], v[0:1], off
	v_add_co_u32 v0, vcc_lo, v63, s10
	v_add_co_ci_u32_e32 v1, vcc_lo, s11, v64, vcc_lo
	global_load_b128 v[184:187], v[65:66], off offset:3552
	v_add_co_u32 v75, vcc_lo, v0, s10
	v_add_co_ci_u32_e32 v76, vcc_lo, s11, v1, vcc_lo
	global_load_b128 v[63:66], v[63:64], off
	global_load_b128 v[188:191], v[67:68], off offset:3056
	global_load_b128 v[67:70], v[0:1], off
	scratch_store_b64 off, v[71:72], off offset:36 ; 8-byte Folded Spill
	global_load_b128 v[193:196], v[71:72], off offset:2560
	global_load_b128 v[71:74], v[75:76], off
	v_add_co_u32 v75, vcc_lo, v75, s10
	v_add_co_ci_u32_e32 v76, vcc_lo, s11, v76, vcc_lo
	v_add_co_u32 v83, vcc_lo, 0x8000, v81
	v_add_co_ci_u32_e32 v84, vcc_lo, 0, v82, vcc_lo
	s_delay_alu instid0(VALU_DEP_4) | instskip(NEXT) | instid1(VALU_DEP_4)
	v_add_co_u32 v0, vcc_lo, v75, s10
	v_add_co_ci_u32_e32 v1, vcc_lo, s11, v76, vcc_lo
	s_clause 0x1
	global_load_b128 v[197:200], v[77:78], off offset:2064
	global_load_b128 v[201:204], v[79:80], off offset:1568
	s_clause 0x3
	scratch_store_b64 off, v[81:82], off offset:4
	scratch_store_b64 off, v[83:84], off offset:12
	;; [unrolled: 1-line block ×4, first 2 shown]
	global_load_b128 v[75:78], v[75:76], off
	global_load_b128 v[205:208], v[83:84], off offset:1072
	global_load_b128 v[79:82], v[0:1], off
	v_cmp_gt_u16_e32 vcc_lo, 45, v2
	s_waitcnt vmcnt(39)
	scratch_store_b128 off, v[115:118], off offset:84 ; 16-byte Folded Spill
	s_waitcnt vmcnt(38)
	scratch_store_b128 off, v[119:122], off offset:100 ; 16-byte Folded Spill
	;; [unrolled: 2-line block ×10, first 2 shown]
	s_waitcnt vmcnt(29)
	v_mul_f64 v[83:84], v[5:6], v[121:122]
	s_waitcnt vmcnt(28)
	v_mul_f64 v[87:88], v[9:10], v[117:118]
	v_mul_f64 v[89:90], v[7:8], v[117:118]
	;; [unrolled: 1-line block ×3, first 2 shown]
	s_waitcnt vmcnt(27)
	v_mul_f64 v[91:92], v[13:14], v[125:126]
	v_mul_f64 v[93:94], v[11:12], v[125:126]
	s_waitcnt vmcnt(26)
	v_mul_f64 v[95:96], v[17:18], v[143:144]
	v_mul_f64 v[97:98], v[15:16], v[143:144]
	;; [unrolled: 3-line block ×3, first 2 shown]
	v_fma_f64 v[3:4], v[3:4], v[119:120], v[83:84]
	v_fma_f64 v[7:8], v[7:8], v[115:116], v[87:88]
	v_fma_f64 v[9:10], v[9:10], v[115:116], -v[89:90]
	v_fma_f64 v[5:6], v[5:6], v[119:120], -v[85:86]
	s_waitcnt vmcnt(24)
	v_mul_f64 v[83:84], v[37:38], v[158:159]
	v_mul_f64 v[85:86], v[35:36], v[158:159]
	v_fma_f64 v[11:12], v[11:12], v[123:124], v[91:92]
	v_fma_f64 v[13:14], v[13:14], v[123:124], -v[93:94]
	v_fma_f64 v[15:16], v[15:16], v[141:142], v[95:96]
	v_fma_f64 v[17:18], v[17:18], v[141:142], -v[97:98]
	s_waitcnt vmcnt(21)
	v_mul_f64 v[107:108], v[29:30], v[166:167]
	v_mul_f64 v[109:110], v[27:28], v[166:167]
	v_fma_f64 v[23:24], v[23:24], v[180:181], v[103:104]
	v_fma_f64 v[25:26], v[25:26], v[180:181], -v[105:106]
	s_waitcnt vmcnt(20)
	v_mul_f64 v[111:112], v[33:34], v[162:163]
	v_mul_f64 v[113:114], v[31:32], v[162:163]
	s_waitcnt vmcnt(17)
	v_mul_f64 v[95:96], v[49:50], v[178:179]
	v_mul_f64 v[87:88], v[41:42], v[154:155]
	;; [unrolled: 1-line block ×6, first 2 shown]
	s_waitcnt vmcnt(15)
	v_mul_f64 v[117:118], v[53:54], v[170:171]
	v_mul_f64 v[119:120], v[51:52], v[170:171]
	s_waitcnt vmcnt(13)
	v_mul_f64 v[99:100], v[21:22], v[211:212]
	v_mul_f64 v[101:102], v[19:20], v[211:212]
	;; [unrolled: 3-line block ×3, first 2 shown]
	scratch_store_b128 off, v[209:212], off offset:388 ; 16-byte Folded Spill
	v_fma_f64 v[35:36], v[35:36], v[156:157], v[83:84]
	s_waitcnt vmcnt(10)
	v_mul_f64 v[125:126], v[61:62], v[186:187]
	v_mul_f64 v[127:128], v[59:60], v[186:187]
	v_fma_f64 v[37:38], v[37:38], v[156:157], -v[85:86]
	s_clause 0x1
	scratch_store_b128 off, v[176:179], off offset:228
	scratch_store_b128 off, v[172:175], off offset:212
	s_waitcnt vmcnt(8)
	v_mul_f64 v[129:130], v[65:66], v[190:191]
	v_mul_f64 v[131:132], v[63:64], v[190:191]
	s_waitcnt vmcnt(6)
	v_mul_f64 v[133:134], v[69:70], v[195:196]
	v_mul_f64 v[135:136], v[67:68], v[195:196]
	s_clause 0x3
	scratch_store_b128 off, v[168:171], off offset:196
	scratch_store_b128 off, v[184:187], off offset:292
	;; [unrolled: 1-line block ×4, first 2 shown]
	v_fma_f64 v[27:28], v[27:28], v[164:165], v[107:108]
	v_fma_f64 v[29:30], v[29:30], v[164:165], -v[109:110]
	v_fma_f64 v[31:32], v[31:32], v[160:161], v[111:112]
	s_waitcnt vmcnt(4)
	v_mul_f64 v[137:138], v[73:74], v[199:200]
	v_mul_f64 v[139:140], v[71:72], v[199:200]
	v_fma_f64 v[33:34], v[33:34], v[160:161], -v[113:114]
	v_fma_f64 v[47:48], v[47:48], v[176:177], v[95:96]
	v_fma_f64 v[39:40], v[39:40], v[152:153], v[87:88]
	v_fma_f64 v[41:42], v[41:42], v[152:153], -v[89:90]
	s_waitcnt vmcnt(2)
	v_mul_f64 v[97:98], v[77:78], v[203:204]
	v_mul_f64 v[141:142], v[75:76], v[203:204]
	s_waitcnt vmcnt(0)
	v_mul_f64 v[143:144], v[81:82], v[207:208]
	v_mul_f64 v[145:146], v[79:80], v[207:208]
	v_fma_f64 v[43:44], v[43:44], v[148:149], v[91:92]
	v_fma_f64 v[45:46], v[45:46], v[148:149], -v[93:94]
	v_fma_f64 v[49:50], v[49:50], v[176:177], -v[115:116]
	v_fma_f64 v[51:52], v[51:52], v[168:169], v[117:118]
	v_fma_f64 v[53:54], v[53:54], v[168:169], -v[119:120]
	v_fma_f64 v[19:20], v[19:20], v[209:210], v[99:100]
	v_fma_f64 v[21:22], v[21:22], v[209:210], -v[101:102]
	v_fma_f64 v[55:56], v[55:56], v[172:173], v[121:122]
	v_fma_f64 v[57:58], v[57:58], v[172:173], -v[123:124]
	v_fma_f64 v[59:60], v[59:60], v[184:185], v[125:126]
	v_fma_f64 v[61:62], v[61:62], v[184:185], -v[127:128]
	s_clause 0x1
	scratch_store_b128 off, v[197:200], off offset:340
	scratch_store_b128 off, v[201:204], off offset:356
	v_fma_f64 v[63:64], v[63:64], v[188:189], v[129:130]
	v_fma_f64 v[65:66], v[65:66], v[188:189], -v[131:132]
	v_fma_f64 v[67:68], v[67:68], v[193:194], v[133:134]
	v_fma_f64 v[69:70], v[69:70], v[193:194], -v[135:136]
	scratch_store_b128 off, v[205:208], off offset:372 ; 16-byte Folded Spill
	s_load_b64 s[8:9], s[0:1], 0x38
	s_load_b128 s[4:7], s[6:7], 0x0
	v_fma_f64 v[71:72], v[71:72], v[197:198], v[137:138]
	v_fma_f64 v[73:74], v[73:74], v[197:198], -v[139:140]
	ds_store_b128 v192, v[7:10] offset:3600
	ds_store_b128 v192, v[43:46] offset:1440
	;; [unrolled: 1-line block ×16, first 2 shown]
	v_fma_f64 v[75:76], v[75:76], v[201:202], v[97:98]
	v_fma_f64 v[77:78], v[77:78], v[201:202], -v[141:142]
	v_fma_f64 v[79:80], v[79:80], v[205:206], v[143:144]
	v_fma_f64 v[81:82], v[81:82], v[205:206], -v[145:146]
	ds_store_b128 v192, v[39:42] offset:32400
	ds_store_b128 v192, v[75:78] offset:30240
	ds_store_b128 v192, v[3:6]
	ds_store_b128 v192, v[79:82] offset:33840
	s_and_saveexec_b32 s12, vcc_lo
	s_cbranch_execz .LBB0_3
; %bb.2:
	v_add_co_u32 v4, s2, v0, s2
	s_delay_alu instid0(VALU_DEP_1)
	v_add_co_ci_u32_e64 v5, s2, s3, v1, s2
	scratch_load_b64 v[16:17], off, off offset:68 ; 8-byte Folded Reload
	v_add_co_u32 v8, s2, v4, s10
	global_load_b128 v[0:3], v[4:5], off
	v_add_co_ci_u32_e64 v9, s2, s11, v5, s2
	scratch_load_b64 v[4:5], off, off offset:4 ; 8-byte Folded Reload
	v_add_co_u32 v12, s2, v8, s10
	s_delay_alu instid0(VALU_DEP_1) | instskip(SKIP_2) | instid1(VALU_DEP_1)
	v_add_co_ci_u32_e64 v13, s2, s11, v9, s2
	global_load_b128 v[8:11], v[8:9], off
	v_add_co_u32 v24, s2, v12, s10
	v_add_co_ci_u32_e64 v25, s2, s11, v13, s2
	global_load_b128 v[12:15], v[12:13], off
	v_add_co_u32 v28, s2, v24, s10
	s_delay_alu instid0(VALU_DEP_1) | instskip(NEXT) | instid1(VALU_DEP_2)
	v_add_co_ci_u32_e64 v29, s2, s11, v25, s2
	v_add_co_u32 v40, s2, v28, s10
	s_delay_alu instid0(VALU_DEP_1) | instskip(NEXT) | instid1(VALU_DEP_2)
	v_add_co_ci_u32_e64 v41, s2, s11, v29, s2
	;; [unrolled: 3-line block ×5, first 2 shown]
	v_add_co_u32 v76, s2, v64, s10
	s_delay_alu instid0(VALU_DEP_1)
	v_add_co_ci_u32_e64 v77, s2, s11, v65, s2
	s_waitcnt vmcnt(2)
	s_clause 0x1
	global_load_b128 v[4:7], v[4:5], off offset:2880
	global_load_b128 v[16:19], v[16:17], off offset:2384
	scratch_load_b64 v[20:21], off, off offset:60 ; 8-byte Folded Reload
	global_load_b128 v[24:27], v[24:25], off
	s_waitcnt vmcnt(2)
	v_mul_f64 v[82:83], v[10:11], v[18:19]
	s_waitcnt vmcnt(1)
	global_load_b128 v[20:23], v[20:21], off offset:1888
	global_load_b128 v[28:31], v[28:29], off
	scratch_load_b64 v[32:33], off, off offset:52 ; 8-byte Folded Reload
	v_mul_f64 v[80:81], v[2:3], v[6:7]
	v_mul_f64 v[6:7], v[0:1], v[6:7]
	;; [unrolled: 1-line block ×3, first 2 shown]
	s_waitcnt vmcnt(0)
	global_load_b128 v[32:35], v[32:33], off offset:1392
	scratch_load_b64 v[36:37], off, off offset:44 ; 8-byte Folded Reload
	v_mul_f64 v[84:85], v[14:15], v[22:23]
	v_mul_f64 v[22:23], v[12:13], v[22:23]
	v_fma_f64 v[0:1], v[0:1], v[4:5], v[80:81]
	v_fma_f64 v[2:3], v[2:3], v[4:5], -v[6:7]
	v_fma_f64 v[4:5], v[8:9], v[16:17], v[82:83]
	v_fma_f64 v[6:7], v[10:11], v[16:17], -v[18:19]
	s_waitcnt vmcnt(0)
	global_load_b128 v[36:39], v[36:37], off offset:896
	global_load_b128 v[40:43], v[40:41], off
	global_load_b128 v[44:47], v[48:49], off
	scratch_load_b64 v[52:53], off, off offset:36 ; 8-byte Folded Reload
	v_mul_f64 v[86:87], v[26:27], v[34:35]
	v_mul_f64 v[34:35], v[24:25], v[34:35]
	v_fma_f64 v[8:9], v[12:13], v[20:21], v[84:85]
	v_fma_f64 v[10:11], v[14:15], v[20:21], -v[22:23]
	s_waitcnt vmcnt(0)
	s_clause 0x1
	global_load_b128 v[48:51], v[52:53], off offset:400
	global_load_b128 v[52:55], v[52:53], off offset:4000
	scratch_load_b64 v[60:61], off, off offset:28 ; 8-byte Folded Reload
	global_load_b128 v[56:59], v[56:57], off
	v_mul_f64 v[88:89], v[30:31], v[38:39]
	v_mul_f64 v[38:39], v[28:29], v[38:39]
	v_fma_f64 v[12:13], v[24:25], v[32:33], v[86:87]
	v_fma_f64 v[14:15], v[26:27], v[32:33], -v[34:35]
	s_waitcnt vmcnt(1)
	global_load_b128 v[60:63], v[60:61], off offset:3504
	global_load_b128 v[64:67], v[64:65], off
	scratch_load_b64 v[68:69], off, off offset:20 ; 8-byte Folded Reload
	v_mul_f64 v[90:91], v[42:43], v[50:51]
	v_mul_f64 v[50:51], v[40:41], v[50:51]
	;; [unrolled: 1-line block ×4, first 2 shown]
	v_fma_f64 v[16:17], v[28:29], v[36:37], v[88:89]
	v_fma_f64 v[18:19], v[30:31], v[36:37], -v[38:39]
	s_waitcnt vmcnt(0)
	global_load_b128 v[68:71], v[68:69], off offset:3008
	scratch_load_b64 v[72:73], off, off offset:12 ; 8-byte Folded Reload
	v_mul_f64 v[94:95], v[58:59], v[62:63]
	v_mul_f64 v[62:63], v[56:57], v[62:63]
	v_fma_f64 v[20:21], v[40:41], v[48:49], v[90:91]
	v_fma_f64 v[22:23], v[42:43], v[48:49], -v[50:51]
	v_fma_f64 v[24:25], v[44:45], v[52:53], v[92:93]
	v_fma_f64 v[26:27], v[46:47], v[52:53], -v[54:55]
	s_waitcnt vmcnt(0)
	global_load_b128 v[72:75], v[72:73], off offset:2512
	global_load_b128 v[76:79], v[76:77], off
	v_mul_f64 v[96:97], v[66:67], v[70:71]
	v_mul_f64 v[70:71], v[64:65], v[70:71]
	v_fma_f64 v[28:29], v[56:57], v[60:61], v[94:95]
	v_fma_f64 v[30:31], v[58:59], v[60:61], -v[62:63]
	s_delay_alu instid0(VALU_DEP_4) | instskip(NEXT) | instid1(VALU_DEP_4)
	v_fma_f64 v[32:33], v[64:65], v[68:69], v[96:97]
	v_fma_f64 v[34:35], v[66:67], v[68:69], -v[70:71]
	s_waitcnt vmcnt(0)
	v_mul_f64 v[98:99], v[78:79], v[74:75]
	v_mul_f64 v[74:75], v[76:77], v[74:75]
	s_delay_alu instid0(VALU_DEP_2) | instskip(NEXT) | instid1(VALU_DEP_2)
	v_fma_f64 v[36:37], v[76:77], v[72:73], v[98:99]
	v_fma_f64 v[38:39], v[78:79], v[72:73], -v[74:75]
	ds_store_b128 v192, v[4:7] offset:6480
	ds_store_b128 v192, v[8:11] offset:10080
	;; [unrolled: 1-line block ×10, first 2 shown]
.LBB0_3:
	s_or_b32 exec_lo, exec_lo, s12
	scratch_store_b32 off, v147, off        ; 4-byte Folded Spill
	s_waitcnt lgkmcnt(0)
	s_waitcnt_vscnt null, 0x0
	s_barrier
	buffer_gl0_inv
	ds_load_b128 v[80:83], v192 offset:3600
	ds_load_b128 v[76:79], v192 offset:1440
	;; [unrolled: 1-line block ×18, first 2 shown]
	ds_load_b128 v[116:119], v192
	ds_load_b128 v[8:11], v192 offset:33840
                                        ; implicit-def: $vgpr60_vgpr61
                                        ; implicit-def: $vgpr0_vgpr1
                                        ; implicit-def: $vgpr32_vgpr33
                                        ; implicit-def: $vgpr4_vgpr5
                                        ; implicit-def: $vgpr44_vgpr45
                                        ; implicit-def: $vgpr28_vgpr29
                                        ; implicit-def: $vgpr52_vgpr53
                                        ; implicit-def: $vgpr36_vgpr37
                                        ; implicit-def: $vgpr56_vgpr57
                                        ; implicit-def: $vgpr48_vgpr49
	s_and_saveexec_b32 s2, vcc_lo
	s_cbranch_execz .LBB0_5
; %bb.4:
	ds_load_b128 v[0:3], v192 offset:6480
	ds_load_b128 v[32:35], v192 offset:10080
	;; [unrolled: 1-line block ×10, first 2 shown]
.LBB0_5:
	s_or_b32 exec_lo, exec_lo, s2
	s_waitcnt lgkmcnt(5)
	v_add_f64 v[122:123], v[108:109], v[100:101]
	v_add_f64 v[126:127], v[110:111], v[102:103]
	s_waitcnt lgkmcnt(1)
	v_add_f64 v[136:137], v[118:119], v[110:111]
	v_add_f64 v[120:121], v[112:113], v[104:105]
	;; [unrolled: 1-line block ×4, first 2 shown]
	v_add_f64 v[138:139], v[102:103], -v[106:107]
	v_add_f64 v[142:143], v[98:99], v[94:95]
	v_add_f64 v[146:147], v[96:97], -v[92:93]
	v_add_f64 v[148:149], v[84:85], -v[96:97]
	;; [unrolled: 1-line block ×11, first 2 shown]
	s_waitcnt lgkmcnt(0)
	v_add_f64 v[197:198], v[8:9], -v[12:13]
	v_add_f64 v[199:200], v[12:13], -v[8:9]
	s_mov_b32 s2, 0x134454ff
	s_mov_b32 s3, 0x3fee6f0e
	v_add_f64 v[188:189], v[18:19], -v[10:11]
	v_add_f64 v[201:202], v[10:11], -v[14:15]
	;; [unrolled: 1-line block ×3, first 2 shown]
	s_mov_b32 s14, 0x4755a5e
	s_mov_b32 s15, 0x3fe2cf23
	;; [unrolled: 1-line block ×4, first 2 shown]
	v_add_f64 v[195:196], v[18:19], -v[22:23]
	v_add_f64 v[217:218], v[32:33], -v[44:45]
	;; [unrolled: 1-line block ×5, first 2 shown]
	s_mov_b32 s10, 0x372fe950
	s_mov_b32 s11, 0x3fd3c6ef
	;; [unrolled: 1-line block ×3, first 2 shown]
	v_fma_f64 v[124:125], v[122:123], -0.5, v[116:117]
	v_add_f64 v[122:123], v[114:115], v[106:107]
	v_fma_f64 v[126:127], v[126:127], -0.5, v[118:119]
	v_fma_f64 v[120:121], v[120:121], -0.5, v[116:117]
	v_add_f64 v[116:117], v[110:111], -v[102:103]
	v_add_f64 v[134:135], v[134:135], v[112:113]
	v_add_f64 v[136:137], v[136:137], v[114:115]
	v_fma_f64 v[140:141], v[140:141], -0.5, v[80:81]
	v_fma_f64 v[142:143], v[142:143], -0.5, v[82:83]
	s_mov_b32 s16, s14
	v_add_f64 v[221:222], v[34:35], -v[46:47]
	v_add_f64 v[223:224], v[46:47], -v[34:35]
	;; [unrolled: 1-line block ×4, first 2 shown]
	s_mov_b32 s18, 0x9b97f4a8
	s_mov_b32 s19, 0x3fe9e377
	v_add_f64 v[243:244], v[4:5], -v[28:29]
	v_add_f64 v[245:246], v[28:29], -v[4:5]
	;; [unrolled: 1-line block ×16, first 2 shown]
	v_fma_f64 v[122:123], v[122:123], -0.5, v[118:119]
	v_add_f64 v[118:119], v[108:109], -v[112:113]
	scratch_store_b64 off, v[118:119], off offset:436 ; 8-byte Folded Spill
	v_add_f64 v[118:119], v[112:113], -v[108:109]
	v_add_f64 v[108:109], v[108:109], -v[100:101]
	v_add_f64 v[112:113], v[112:113], -v[104:105]
	scratch_store_b64 off, v[118:119], off offset:404 ; 8-byte Folded Spill
	v_add_f64 v[118:119], v[110:111], -v[114:115]
	v_add_f64 v[110:111], v[114:115], -v[110:111]
	scratch_store_b64 off, v[110:111], off offset:420 ; 8-byte Folded Spill
	v_add_f64 v[110:111], v[114:115], -v[106:107]
	v_add_f64 v[114:115], v[134:135], v[104:105]
	v_add_f64 v[134:135], v[136:137], v[106:107]
	v_add_f64 v[136:137], v[100:101], -v[104:105]
	v_add_f64 v[104:105], v[104:105], -v[100:101]
	;; [unrolled: 1-line block ×3, first 2 shown]
	v_add_f64 v[100:101], v[114:115], v[100:101]
	v_add_f64 v[114:115], v[96:97], v[92:93]
	;; [unrolled: 1-line block ×4, first 2 shown]
	s_delay_alu instid0(VALU_DEP_3) | instskip(SKIP_1) | instid1(VALU_DEP_3)
	v_fma_f64 v[114:115], v[114:115], -0.5, v[80:81]
	v_add_f64 v[80:81], v[80:81], v[84:85]
	v_fma_f64 v[134:135], v[134:135], -0.5, v[82:83]
	v_add_f64 v[82:83], v[82:83], v[86:87]
	s_delay_alu instid0(VALU_DEP_3) | instskip(SKIP_2) | instid1(VALU_DEP_4)
	v_add_f64 v[80:81], v[80:81], v[96:97]
	v_add_f64 v[96:97], v[96:97], -v[84:85]
	v_add_f64 v[84:85], v[84:85], -v[88:89]
	v_add_f64 v[82:83], v[82:83], v[98:99]
	v_add_f64 v[98:99], v[98:99], -v[86:87]
	v_add_f64 v[86:87], v[86:87], -v[90:91]
	v_add_f64 v[80:81], v[80:81], v[92:93]
	v_add_f64 v[92:93], v[92:93], -v[88:89]
	v_add_f64 v[82:83], v[82:83], v[94:95]
	v_add_f64 v[94:95], v[94:95], -v[90:91]
	s_delay_alu instid0(VALU_DEP_4) | instskip(SKIP_1) | instid1(VALU_DEP_4)
	v_add_f64 v[80:81], v[80:81], v[88:89]
	v_add_f64 v[88:89], v[72:73], v[64:65]
	;; [unrolled: 1-line block ×3, first 2 shown]
	v_add_f64 v[90:91], v[72:73], -v[68:69]
	s_delay_alu instid0(VALU_DEP_3) | instskip(SKIP_1) | instid1(VALU_DEP_1)
	v_fma_f64 v[156:157], v[88:89], -0.5, v[76:77]
	v_add_f64 v[88:89], v[68:69], v[40:41]
	v_fma_f64 v[158:159], v[88:89], -0.5, v[76:77]
	v_add_f64 v[88:89], v[74:75], v[66:67]
	v_add_f64 v[76:77], v[76:77], v[68:69]
	s_delay_alu instid0(VALU_DEP_2) | instskip(SKIP_1) | instid1(VALU_DEP_1)
	v_fma_f64 v[160:161], v[88:89], -0.5, v[78:79]
	v_add_f64 v[88:89], v[70:71], v[42:43]
	v_fma_f64 v[162:163], v[88:89], -0.5, v[78:79]
	v_add_f64 v[88:89], v[68:69], -v[72:73]
	v_add_f64 v[68:69], v[76:77], v[72:73]
	v_add_f64 v[76:77], v[40:41], -v[64:65]
	v_add_f64 v[78:79], v[78:79], v[70:71]
	s_delay_alu instid0(VALU_DEP_3) | instskip(NEXT) | instid1(VALU_DEP_2)
	v_add_f64 v[68:69], v[68:69], v[64:65]
	v_add_f64 v[70:71], v[78:79], v[74:75]
	v_add_f64 v[78:79], v[42:43], -v[66:67]
	s_delay_alu instid0(VALU_DEP_3) | instskip(SKIP_1) | instid1(VALU_DEP_4)
	v_add_f64 v[72:73], v[68:69], v[40:41]
	v_add_f64 v[40:41], v[20:21], v[12:13]
	;; [unrolled: 1-line block ×4, first 2 shown]
	s_delay_alu instid0(VALU_DEP_3) | instskip(SKIP_1) | instid1(VALU_DEP_4)
	v_fma_f64 v[180:181], v[40:41], -0.5, v[24:25]
	v_add_f64 v[40:41], v[16:17], v[8:9]
	v_add_f64 v[74:75], v[70:71], v[42:43]
	s_delay_alu instid0(VALU_DEP_2) | instskip(SKIP_3) | instid1(VALU_DEP_3)
	v_fma_f64 v[182:183], v[40:41], -0.5, v[24:25]
	v_add_f64 v[24:25], v[24:25], v[16:17]
	v_add_f64 v[40:41], v[22:23], v[14:15]
	v_add_f64 v[16:17], v[16:17], -v[8:9]
	v_add_f64 v[24:25], v[24:25], v[20:21]
	v_add_f64 v[20:21], v[20:21], -v[12:13]
	s_delay_alu instid0(VALU_DEP_4) | instskip(SKIP_1) | instid1(VALU_DEP_4)
	v_fma_f64 v[184:185], v[40:41], -0.5, v[26:27]
	v_add_f64 v[40:41], v[18:19], v[10:11]
	v_add_f64 v[24:25], v[24:25], v[12:13]
	;; [unrolled: 1-line block ×3, first 2 shown]
	s_delay_alu instid0(VALU_DEP_3)
	v_fma_f64 v[186:187], v[40:41], -0.5, v[26:27]
	v_add_f64 v[26:27], v[26:27], v[18:19]
	v_add_f64 v[18:19], v[22:23], -v[18:19]
	v_add_f64 v[24:25], v[24:25], v[8:9]
	v_fma_f64 v[233:234], v[12:13], -0.5, v[0:1]
	v_add_f64 v[12:13], v[4:5], v[48:49]
	v_add_f64 v[8:9], v[44:45], v[52:53]
	;; [unrolled: 1-line block ×3, first 2 shown]
	v_add_f64 v[22:23], v[22:23], -v[14:15]
	v_add_f64 v[18:19], v[18:19], v[203:204]
	v_fma_f64 v[235:236], v[12:13], -0.5, v[0:1]
	v_add_f64 v[12:13], v[30:31], v[38:39]
	v_fma_f64 v[205:206], v[8:9], -0.5, v[60:61]
	v_add_f64 v[8:9], v[32:33], v[56:57]
	v_add_f64 v[26:27], v[26:27], v[14:15]
	;; [unrolled: 1-line block ×3, first 2 shown]
	v_fma_f64 v[14:15], v[84:85], s[12:13], v[142:143]
	v_add_f64 v[4:5], v[100:101], v[80:81]
	v_fma_f64 v[237:238], v[12:13], -0.5, v[2:3]
	v_add_f64 v[12:13], v[6:7], v[50:51]
	v_fma_f64 v[207:208], v[8:9], -0.5, v[60:61]
	v_add_f64 v[8:9], v[46:47], v[54:55]
	v_add_f64 v[26:27], v[26:27], v[10:11]
	;; [unrolled: 1-line block ×4, first 2 shown]
	v_fma_f64 v[14:15], v[146:147], s[16:17], v[14:15]
	v_add_f64 v[28:29], v[28:29], -v[36:37]
	v_fma_f64 v[239:240], v[12:13], -0.5, v[2:3]
	scratch_load_b64 v[12:13], off, off offset:436 ; 8-byte Folded Reload
	v_fma_f64 v[209:210], v[8:9], -0.5, v[62:63]
	v_add_f64 v[8:9], v[34:35], v[58:59]
	v_add_f64 v[10:11], v[10:11], v[46:47]
	v_add_f64 v[46:47], v[58:59], -v[54:55]
	v_add_f64 v[2:3], v[2:3], v[6:7]
	v_add_f64 v[0:1], v[0:1], v[36:37]
	;; [unrolled: 1-line block ×3, first 2 shown]
	v_add_f64 v[34:35], v[102:103], -v[82:83]
	v_fma_f64 v[82:83], v[108:109], s[2:3], v[122:123]
	v_fma_f64 v[211:212], v[8:9], -0.5, v[62:63]
	v_add_f64 v[8:9], v[60:61], v[32:33]
	v_add_f64 v[10:11], v[10:11], v[54:55]
	;; [unrolled: 1-line block ×4, first 2 shown]
	v_add_f64 v[30:31], v[30:31], -v[38:39]
	v_add_f64 v[0:1], v[0:1], v[48:49]
	v_add_f64 v[32:33], v[100:101], -v[80:81]
	v_fma_f64 v[80:81], v[116:117], s[12:13], v[120:121]
	v_fma_f64 v[82:83], v[112:113], s[14:15], v[82:83]
	v_add_f64 v[100:101], v[170:171], v[178:179]
	v_add_f64 v[8:9], v[8:9], v[44:45]
	v_add_f64 v[44:45], v[56:57], -v[52:53]
	v_fma_f64 v[14:15], v[54:55], s[10:11], v[14:15]
	v_add_f64 v[2:3], v[2:3], v[38:39]
	v_add_f64 v[10:11], v[10:11], v[58:59]
	v_fma_f64 v[80:81], v[110:111], s[16:17], v[80:81]
	v_add_f64 v[8:9], v[8:9], v[52:53]
	v_add_f64 v[52:53], v[148:149], v[152:153]
	;; [unrolled: 1-line block ×5, first 2 shown]
	scratch_load_b32 v199, off, off         ; 4-byte Folded Reload
	v_add_f64 v[132:133], v[8:9], v[56:57]
	v_add_f64 v[8:9], v[36:37], -v[48:49]
	v_add_f64 v[48:49], v[96:97], v[92:93]
	v_add_f64 v[96:97], v[90:91], v[176:177]
	v_fma_f64 v[90:91], v[22:23], s[12:13], v[182:183]
	s_delay_alu instid0(VALU_DEP_4) | instskip(NEXT) | instid1(VALU_DEP_2)
	v_add_f64 v[8:9], v[245:246], v[8:9]
	v_fma_f64 v[90:91], v[188:189], s[14:15], v[90:91]
	s_delay_alu instid0(VALU_DEP_1) | instskip(SKIP_3) | instid1(VALU_DEP_1)
	v_fma_f64 v[90:91], v[98:99], s[10:11], v[90:91]
	s_waitcnt vmcnt(1)
	v_add_f64 v[64:65], v[12:13], v[136:137]
	v_fma_f64 v[12:13], v[86:87], s[2:3], v[114:115]
	v_fma_f64 v[12:13], v[144:145], s[14:15], v[12:13]
	s_delay_alu instid0(VALU_DEP_1) | instskip(NEXT) | instid1(VALU_DEP_1)
	v_fma_f64 v[12:13], v[52:53], s[10:11], v[12:13]
	v_mul_f64 v[36:37], v[12:13], s[18:19]
	v_mul_f64 v[12:13], v[12:13], s[16:17]
	s_delay_alu instid0(VALU_DEP_2) | instskip(NEXT) | instid1(VALU_DEP_2)
	v_fma_f64 v[36:37], v[14:15], s[14:15], v[36:37]
	v_fma_f64 v[38:39], v[14:15], s[18:19], v[12:13]
	;; [unrolled: 1-line block ×6, first 2 shown]
	s_delay_alu instid0(VALU_DEP_4) | instskip(NEXT) | instid1(VALU_DEP_4)
	v_fma_f64 v[12:13], v[110:111], s[14:15], v[12:13]
	v_fma_f64 v[14:15], v[112:113], s[16:17], v[14:15]
	s_delay_alu instid0(VALU_DEP_2) | instskip(NEXT) | instid1(VALU_DEP_2)
	v_fma_f64 v[40:41], v[64:65], s[10:11], v[12:13]
	v_fma_f64 v[42:43], v[66:67], s[10:11], v[14:15]
	;; [unrolled: 1-line block ×4, first 2 shown]
	s_delay_alu instid0(VALU_DEP_4)
	v_add_f64 v[12:13], v[40:41], v[36:37]
	v_add_f64 v[36:37], v[40:41], -v[36:37]
	scratch_load_b64 v[40:41], off, off offset:404 ; 8-byte Folded Reload
	v_add_f64 v[14:15], v[42:43], v[38:39]
	v_add_f64 v[38:39], v[42:43], -v[38:39]
	v_fma_f64 v[42:43], v[144:145], s[12:13], v[140:141]
	s_delay_alu instid0(VALU_DEP_1) | instskip(NEXT) | instid1(VALU_DEP_1)
	v_fma_f64 v[42:43], v[86:87], s[14:15], v[42:43]
	v_fma_f64 v[42:43], v[48:49], s[10:11], v[42:43]
	s_waitcnt vmcnt(0)
	v_add_f64 v[60:61], v[40:41], v[104:105]
	scratch_load_b64 v[40:41], off, off offset:420 ; 8-byte Folded Reload
	s_waitcnt vmcnt(0)
	s_waitcnt_vscnt null, 0x0
	s_barrier
	buffer_gl0_inv
	v_add_f64 v[62:63], v[40:41], v[106:107]
	v_fma_f64 v[40:41], v[146:147], s[2:3], v[134:135]
	v_fma_f64 v[106:107], v[166:167], s[2:3], v[160:161]
	s_delay_alu instid0(VALU_DEP_2) | instskip(NEXT) | instid1(VALU_DEP_1)
	v_fma_f64 v[40:41], v[84:85], s[16:17], v[40:41]
	v_fma_f64 v[40:41], v[50:51], s[10:11], v[40:41]
	s_delay_alu instid0(VALU_DEP_1) | instskip(NEXT) | instid1(VALU_DEP_1)
	v_mul_f64 v[56:57], v[40:41], s[2:3]
	v_fma_f64 v[56:57], v[42:43], s[10:11], v[56:57]
	v_mul_f64 v[42:43], v[42:43], s[12:13]
	s_delay_alu instid0(VALU_DEP_1) | instskip(SKIP_2) | instid1(VALU_DEP_2)
	v_fma_f64 v[58:59], v[40:41], s[10:11], v[42:43]
	v_fma_f64 v[40:41], v[110:111], s[12:13], v[124:125]
	;; [unrolled: 1-line block ×4, first 2 shown]
	s_delay_alu instid0(VALU_DEP_2) | instskip(NEXT) | instid1(VALU_DEP_2)
	v_fma_f64 v[42:43], v[108:109], s[16:17], v[42:43]
	v_fma_f64 v[68:69], v[60:61], s[10:11], v[40:41]
	s_delay_alu instid0(VALU_DEP_2) | instskip(NEXT) | instid1(VALU_DEP_2)
	v_fma_f64 v[70:71], v[62:63], s[10:11], v[42:43]
	v_add_f64 v[40:41], v[68:69], v[56:57]
	v_add_f64 v[56:57], v[68:69], -v[56:57]
	v_fma_f64 v[68:69], v[144:145], s[2:3], v[140:141]
	s_delay_alu instid0(VALU_DEP_4) | instskip(SKIP_1) | instid1(VALU_DEP_3)
	v_add_f64 v[42:43], v[70:71], v[58:59]
	v_add_f64 v[58:59], v[70:71], -v[58:59]
	v_fma_f64 v[68:69], v[86:87], s[16:17], v[68:69]
	s_delay_alu instid0(VALU_DEP_1) | instskip(SKIP_1) | instid1(VALU_DEP_1)
	v_fma_f64 v[48:49], v[48:49], s[10:11], v[68:69]
	v_fma_f64 v[68:69], v[146:147], s[12:13], v[134:135]
	;; [unrolled: 1-line block ×3, first 2 shown]
	s_delay_alu instid0(VALU_DEP_1) | instskip(SKIP_2) | instid1(VALU_DEP_2)
	v_fma_f64 v[50:51], v[50:51], s[10:11], v[68:69]
	v_fma_f64 v[68:69], v[110:111], s[2:3], v[124:125]
	;; [unrolled: 1-line block ×4, first 2 shown]
	s_delay_alu instid0(VALU_DEP_2) | instskip(NEXT) | instid1(VALU_DEP_2)
	v_fma_f64 v[110:111], v[227:228], s[16:17], v[110:111]
	v_fma_f64 v[60:61], v[60:61], s[10:11], v[68:69]
	;; [unrolled: 1-line block ×3, first 2 shown]
	s_delay_alu instid0(VALU_DEP_1) | instskip(SKIP_1) | instid1(VALU_DEP_2)
	v_fma_f64 v[68:69], v[108:109], s[14:15], v[68:69]
	v_add_f64 v[108:109], v[219:220], v[229:230]
	v_fma_f64 v[62:63], v[62:63], s[10:11], v[68:69]
	v_mul_f64 v[68:69], v[48:49], s[10:11]
	s_delay_alu instid0(VALU_DEP_1) | instskip(SKIP_1) | instid1(VALU_DEP_1)
	v_fma_f64 v[68:69], v[50:51], s[2:3], -v[68:69]
	v_mul_f64 v[50:51], v[50:51], s[10:11]
	v_fma_f64 v[70:71], v[48:49], s[12:13], -v[50:51]
	s_delay_alu instid0(VALU_DEP_3)
	v_add_f64 v[48:49], v[60:61], v[68:69]
	v_add_f64 v[60:61], v[60:61], -v[68:69]
	v_fma_f64 v[68:69], v[86:87], s[12:13], v[114:115]
	v_add_f64 v[86:87], v[195:196], v[201:202]
	v_add_f64 v[50:51], v[62:63], v[70:71]
	v_add_f64 v[62:63], v[62:63], -v[70:71]
	v_fma_f64 v[70:71], v[84:85], s[2:3], v[142:143]
	v_fma_f64 v[68:69], v[144:145], s[16:17], v[68:69]
	v_add_f64 v[84:85], v[190:191], v[197:198]
	s_delay_alu instid0(VALU_DEP_3) | instskip(NEXT) | instid1(VALU_DEP_3)
	v_fma_f64 v[70:71], v[146:147], s[14:15], v[70:71]
	v_fma_f64 v[52:53], v[52:53], s[10:11], v[68:69]
	s_delay_alu instid0(VALU_DEP_2) | instskip(NEXT) | instid1(VALU_DEP_2)
	v_fma_f64 v[54:55], v[54:55], s[10:11], v[70:71]
	v_mul_f64 v[68:69], v[52:53], s[18:19]
	s_delay_alu instid0(VALU_DEP_1) | instskip(SKIP_1) | instid1(VALU_DEP_1)
	v_fma_f64 v[68:69], v[54:55], s[14:15], -v[68:69]
	v_mul_f64 v[54:55], v[54:55], s[18:19]
	v_fma_f64 v[70:71], v[52:53], s[16:17], -v[54:55]
	s_delay_alu instid0(VALU_DEP_3)
	v_add_f64 v[52:53], v[64:65], v[68:69]
	v_add_f64 v[64:65], v[64:65], -v[68:69]
	v_add_f64 v[68:69], v[72:73], v[24:25]
	v_add_f64 v[72:73], v[72:73], -v[24:25]
	v_add_f64 v[24:25], v[88:89], v[76:77]
	v_fma_f64 v[76:77], v[188:189], s[2:3], v[180:181]
	v_add_f64 v[54:55], v[66:67], v[70:71]
	v_add_f64 v[66:67], v[66:67], -v[70:71]
	v_add_f64 v[70:71], v[74:75], v[26:27]
	v_add_f64 v[74:75], v[74:75], -v[26:27]
	v_add_f64 v[26:27], v[168:169], v[78:79]
	v_fma_f64 v[78:79], v[16:17], s[12:13], v[184:185]
	v_fma_f64 v[76:77], v[22:23], s[14:15], v[76:77]
	s_delay_alu instid0(VALU_DEP_2) | instskip(NEXT) | instid1(VALU_DEP_2)
	v_fma_f64 v[78:79], v[20:21], s[16:17], v[78:79]
	v_fma_f64 v[76:77], v[84:85], s[10:11], v[76:77]
	s_delay_alu instid0(VALU_DEP_2) | instskip(NEXT) | instid1(VALU_DEP_2)
	v_fma_f64 v[78:79], v[86:87], s[10:11], v[78:79]
	v_mul_f64 v[80:81], v[76:77], s[18:19]
	v_mul_f64 v[76:77], v[76:77], s[16:17]
	s_delay_alu instid0(VALU_DEP_2) | instskip(NEXT) | instid1(VALU_DEP_2)
	v_fma_f64 v[80:81], v[78:79], s[14:15], v[80:81]
	v_fma_f64 v[82:83], v[78:79], s[18:19], v[76:77]
	;; [unrolled: 1-line block ×4, first 2 shown]
	s_delay_alu instid0(VALU_DEP_2) | instskip(NEXT) | instid1(VALU_DEP_2)
	v_fma_f64 v[76:77], v[172:173], s[14:15], v[76:77]
	v_fma_f64 v[78:79], v[174:175], s[16:17], v[78:79]
	s_delay_alu instid0(VALU_DEP_2) | instskip(NEXT) | instid1(VALU_DEP_2)
	v_fma_f64 v[88:89], v[24:25], s[10:11], v[76:77]
	v_fma_f64 v[92:93], v[26:27], s[10:11], v[78:79]
	s_delay_alu instid0(VALU_DEP_2) | instskip(SKIP_2) | instid1(VALU_DEP_4)
	v_add_f64 v[76:77], v[88:89], v[80:81]
	v_add_f64 v[80:81], v[88:89], -v[80:81]
	v_fma_f64 v[88:89], v[20:21], s[2:3], v[186:187]
	v_add_f64 v[78:79], v[92:93], v[82:83]
	v_add_f64 v[82:83], v[92:93], -v[82:83]
	s_delay_alu instid0(VALU_DEP_3) | instskip(NEXT) | instid1(VALU_DEP_1)
	v_fma_f64 v[88:89], v[16:17], s[16:17], v[88:89]
	v_fma_f64 v[88:89], v[18:19], s[10:11], v[88:89]
	s_delay_alu instid0(VALU_DEP_1) | instskip(NEXT) | instid1(VALU_DEP_1)
	v_mul_f64 v[92:93], v[88:89], s[2:3]
	v_fma_f64 v[92:93], v[90:91], s[10:11], v[92:93]
	v_mul_f64 v[90:91], v[90:91], s[12:13]
	s_delay_alu instid0(VALU_DEP_1) | instskip(SKIP_2) | instid1(VALU_DEP_2)
	v_fma_f64 v[94:95], v[88:89], s[10:11], v[90:91]
	v_fma_f64 v[88:89], v[172:173], s[12:13], v[158:159]
	;; [unrolled: 1-line block ×4, first 2 shown]
	s_delay_alu instid0(VALU_DEP_2) | instskip(NEXT) | instid1(VALU_DEP_2)
	v_fma_f64 v[90:91], v[166:167], s[16:17], v[90:91]
	v_fma_f64 v[102:103], v[96:97], s[10:11], v[88:89]
	s_delay_alu instid0(VALU_DEP_2) | instskip(NEXT) | instid1(VALU_DEP_2)
	v_fma_f64 v[104:105], v[100:101], s[10:11], v[90:91]
	v_add_f64 v[88:89], v[102:103], v[92:93]
	v_add_f64 v[92:93], v[102:103], -v[92:93]
	v_fma_f64 v[102:103], v[22:23], s[2:3], v[182:183]
	s_delay_alu instid0(VALU_DEP_4) | instskip(SKIP_1) | instid1(VALU_DEP_3)
	v_add_f64 v[90:91], v[104:105], v[94:95]
	v_add_f64 v[94:95], v[104:105], -v[94:95]
	v_fma_f64 v[102:103], v[188:189], s[16:17], v[102:103]
	s_delay_alu instid0(VALU_DEP_1) | instskip(SKIP_1) | instid1(VALU_DEP_1)
	v_fma_f64 v[98:99], v[98:99], s[10:11], v[102:103]
	v_fma_f64 v[102:103], v[20:21], s[12:13], v[186:187]
	;; [unrolled: 1-line block ×4, first 2 shown]
	s_delay_alu instid0(VALU_DEP_2) | instskip(SKIP_1) | instid1(VALU_DEP_3)
	v_fma_f64 v[18:19], v[18:19], s[10:11], v[102:103]
	v_fma_f64 v[102:103], v[172:173], s[2:3], v[158:159]
	;; [unrolled: 1-line block ×5, first 2 shown]
	s_delay_alu instid0(VALU_DEP_4) | instskip(NEXT) | instid1(VALU_DEP_4)
	v_fma_f64 v[102:103], v[164:165], s[16:17], v[102:103]
	v_fma_f64 v[16:17], v[86:87], s[10:11], v[16:17]
	s_delay_alu instid0(VALU_DEP_4) | instskip(SKIP_4) | instid1(VALU_DEP_4)
	v_fma_f64 v[20:21], v[26:27], s[10:11], v[20:21]
	v_fma_f64 v[26:27], v[247:248], s[2:3], v[237:238]
	;; [unrolled: 1-line block ×6, first 2 shown]
	s_delay_alu instid0(VALU_DEP_2) | instskip(NEXT) | instid1(VALU_DEP_1)
	v_fma_f64 v[96:97], v[166:167], s[14:15], v[96:97]
	v_fma_f64 v[104:105], v[100:101], s[10:11], v[96:97]
	v_mul_f64 v[96:97], v[98:99], s[10:11]
	s_delay_alu instid0(VALU_DEP_1) | instskip(SKIP_1) | instid1(VALU_DEP_2)
	v_fma_f64 v[100:101], v[18:19], s[2:3], -v[96:97]
	v_mul_f64 v[18:19], v[18:19], s[10:11]
	v_add_f64 v[96:97], v[102:103], v[100:101]
	s_delay_alu instid0(VALU_DEP_2) | instskip(SKIP_1) | instid1(VALU_DEP_2)
	v_fma_f64 v[18:19], v[98:99], s[12:13], -v[18:19]
	v_add_f64 v[100:101], v[102:103], -v[100:101]
	v_add_f64 v[98:99], v[104:105], v[18:19]
	v_add_f64 v[102:103], v[104:105], -v[18:19]
	v_fma_f64 v[18:19], v[188:189], s[12:13], v[180:181]
	v_fma_f64 v[104:105], v[164:165], s[12:13], v[156:157]
	s_delay_alu instid0(VALU_DEP_2) | instskip(NEXT) | instid1(VALU_DEP_2)
	v_fma_f64 v[18:19], v[22:23], s[16:17], v[18:19]
	v_fma_f64 v[22:23], v[172:173], s[16:17], v[104:105]
	;; [unrolled: 1-line block ×3, first 2 shown]
	s_delay_alu instid0(VALU_DEP_3) | instskip(NEXT) | instid1(VALU_DEP_3)
	v_fma_f64 v[18:19], v[84:85], s[10:11], v[18:19]
	v_fma_f64 v[22:23], v[24:25], s[10:11], v[22:23]
	s_delay_alu instid0(VALU_DEP_3) | instskip(NEXT) | instid1(VALU_DEP_3)
	v_fma_f64 v[104:105], v[213:214], s[14:15], v[104:105]
	v_mul_f64 v[24:25], v[18:19], s[18:19]
	s_delay_alu instid0(VALU_DEP_1) | instskip(SKIP_1) | instid1(VALU_DEP_2)
	v_fma_f64 v[24:25], v[16:17], s[14:15], -v[24:25]
	v_mul_f64 v[16:17], v[16:17], s[18:19]
	v_add_f64 v[112:113], v[22:23], v[24:25]
	s_delay_alu instid0(VALU_DEP_2)
	v_fma_f64 v[16:17], v[18:19], s[16:17], -v[16:17]
	v_add_f64 v[116:117], v[22:23], -v[24:25]
	v_fma_f64 v[24:25], v[241:242], s[12:13], v[233:234]
	v_add_f64 v[18:19], v[249:250], v[128:129]
	v_add_f64 v[22:23], v[221:222], v[46:47]
	;; [unrolled: 1-line block ×3, first 2 shown]
	v_add_f64 v[118:119], v[20:21], -v[16:17]
	v_add_f64 v[16:17], v[243:244], v[253:254]
	v_fma_f64 v[24:25], v[30:31], s[16:17], v[24:25]
	v_add_f64 v[20:21], v[217:218], v[44:45]
	v_fma_f64 v[26:27], v[18:19], s[10:11], v[26:27]
	s_delay_alu instid0(VALU_DEP_3) | instskip(NEXT) | instid1(VALU_DEP_1)
	v_fma_f64 v[24:25], v[16:17], s[10:11], v[24:25]
	v_mul_f64 v[44:45], v[24:25], s[18:19]
	s_delay_alu instid0(VALU_DEP_1) | instskip(SKIP_2) | instid1(VALU_DEP_2)
	v_fma_f64 v[84:85], v[26:27], s[14:15], -v[44:45]
	v_fma_f64 v[44:45], v[215:216], s[2:3], v[209:210]
	v_mul_f64 v[26:27], v[26:27], s[18:19]
	v_fma_f64 v[44:45], v[227:228], s[14:15], v[44:45]
	s_delay_alu instid0(VALU_DEP_2) | instskip(SKIP_1) | instid1(VALU_DEP_3)
	v_fma_f64 v[24:25], v[24:25], s[16:17], -v[26:27]
	v_fma_f64 v[26:27], v[213:214], s[12:13], v[205:206]
	v_fma_f64 v[86:87], v[22:23], s[10:11], v[44:45]
	s_delay_alu instid0(VALU_DEP_2) | instskip(NEXT) | instid1(VALU_DEP_2)
	v_fma_f64 v[26:27], v[225:226], s[16:17], v[26:27]
	v_add_f64 v[46:47], v[86:87], v[24:25]
	v_add_f64 v[86:87], v[86:87], -v[24:25]
	v_mul_lo_u16 v24, v199, 10
	s_delay_alu instid0(VALU_DEP_4) | instskip(NEXT) | instid1(VALU_DEP_2)
	v_fma_f64 v[26:27], v[20:21], s[10:11], v[26:27]
	v_and_b32_e32 v24, 0xffff, v24
	s_delay_alu instid0(VALU_DEP_1)
	v_lshlrev_b32_e32 v134, 4, v24
	ds_store_b128 v134, v[4:7]
	ds_store_b128 v134, v[12:15] offset:16
	v_fma_f64 v[4:5], v[241:242], s[2:3], v[233:234]
	v_fma_f64 v[6:7], v[30:31], s[2:3], v[235:236]
	;; [unrolled: 1-line block ×4, first 2 shown]
	v_add_f64 v[14:15], v[251:252], v[130:131]
	ds_store_b128 v134, v[40:43] offset:32
	ds_store_b128 v134, v[48:51] offset:48
	;; [unrolled: 1-line block ×4, first 2 shown]
	v_add_f64 v[48:49], v[132:133], -v[0:1]
	v_add_f64 v[50:51], v[10:11], -v[2:3]
	ds_store_b128 v134, v[36:39] offset:96
	ds_store_b128 v134, v[56:59] offset:112
	;; [unrolled: 1-line block ×3, first 2 shown]
	scratch_store_b32 off, v134, off offset:484 ; 4-byte Folded Spill
	v_add_f64 v[44:45], v[26:27], v[84:85]
	v_add_f64 v[84:85], v[26:27], -v[84:85]
	v_fma_f64 v[26:27], v[28:29], s[12:13], v[239:240]
	v_fma_f64 v[4:5], v[30:31], s[14:15], v[4:5]
	;; [unrolled: 1-line block ×17, first 2 shown]
	v_add_f64 v[26:27], v[223:224], v[231:232]
	v_mul_f64 v[14:15], v[16:17], s[18:19]
	v_fma_f64 v[18:19], v[18:19], s[10:11], v[28:29]
	v_fma_f64 v[30:31], v[225:226], s[14:15], v[30:31]
	v_mul_f64 v[16:17], v[16:17], s[16:17]
	v_fma_f64 v[28:29], v[215:216], s[14:15], v[122:123]
	v_fma_f64 v[24:25], v[26:27], s[10:11], v[24:25]
	;; [unrolled: 1-line block ×6, first 2 shown]
	v_mul_f64 v[16:17], v[126:127], s[2:3]
	v_fma_f64 v[26:27], v[26:27], s[10:11], v[28:29]
	v_add_f64 v[52:53], v[4:5], -v[14:15]
	s_delay_alu instid0(VALU_DEP_4) | instskip(NEXT) | instid1(VALU_DEP_4)
	v_add_f64 v[54:55], v[20:21], -v[22:23]
	v_fma_f64 v[16:17], v[8:9], s[10:11], v[16:17]
	v_mul_f64 v[8:9], v[8:9], s[12:13]
	s_delay_alu instid0(VALU_DEP_2) | instskip(NEXT) | instid1(VALU_DEP_2)
	v_add_f64 v[104:105], v[6:7], -v[16:17]
	v_fma_f64 v[28:29], v[126:127], s[10:11], v[8:9]
	v_mul_f64 v[8:9], v[124:125], s[10:11]
	s_delay_alu instid0(VALU_DEP_2) | instskip(NEXT) | instid1(VALU_DEP_2)
	v_add_f64 v[106:107], v[24:25], -v[28:29]
	v_fma_f64 v[18:19], v[128:129], s[2:3], -v[8:9]
	v_mul_f64 v[8:9], v[128:129], s[10:11]
	v_add_co_u32 v195, s2, 0x5a, v199
	s_delay_alu instid0(VALU_DEP_1)
	v_add_co_ci_u32_e64 v164, null, 0, 0, s2
	s_load_b64 s[2:3], s[0:1], 0x8
	v_add_co_u32 v194, s0, 0xb4, v199
	v_add_f64 v[108:109], v[12:13], -v[18:19]
	v_fma_f64 v[30:31], v[124:125], s[12:13], -v[8:9]
	v_mul_u32_u24_e32 v8, 10, v195
	s_delay_alu instid0(VALU_DEP_1)
	v_lshlrev_b32_e32 v193, 4, v8
	v_add_co_ci_u32_e64 v8, null, 0, 0, s0
	v_mul_u32_u24_e32 v8, 10, v194
	ds_store_b128 v134, v[64:67] offset:144
	ds_store_b128 v193, v[68:71]
	ds_store_b128 v193, v[76:79] offset:16
	ds_store_b128 v193, v[88:91] offset:32
	;; [unrolled: 1-line block ×5, first 2 shown]
	scratch_store_b32 off, v8, off offset:1452 ; 4-byte Folded Spill
	ds_store_b128 v193, v[80:83] offset:96
	ds_store_b128 v193, v[92:95] offset:112
	;; [unrolled: 1-line block ×4, first 2 shown]
	v_add_f64 v[110:111], v[26:27], -v[30:31]
	s_and_saveexec_b32 s0, vcc_lo
	s_cbranch_execz .LBB0_7
; %bb.6:
	v_add_f64 v[2:3], v[10:11], v[2:3]
	v_add_f64 v[0:1], v[132:133], v[0:1]
	;; [unrolled: 1-line block ×8, first 2 shown]
	v_mul_u32_u24_e32 v4, 10, v194
	s_delay_alu instid0(VALU_DEP_1)
	v_lshlrev_b32_e32 v4, 4, v4
	ds_store_b128 v4, v[44:47] offset:64
	ds_store_b128 v4, v[48:51] offset:80
	;; [unrolled: 1-line block ×4, first 2 shown]
	ds_store_b128 v4, v[0:3]
	ds_store_b128 v4, v[20:23] offset:16
	ds_store_b128 v4, v[28:31] offset:32
	;; [unrolled: 1-line block ×5, first 2 shown]
.LBB0_7:
	s_or_b32 exec_lo, exec_lo, s0
	s_waitcnt lgkmcnt(0)
	s_waitcnt_vscnt null, 0x0
	s_barrier
	buffer_gl0_inv
	ds_load_b128 v[80:83], v192 offset:1440
	ds_load_b128 v[76:79], v192 offset:2880
	;; [unrolled: 1-line block ×22, first 2 shown]
	ds_load_b128 v[88:91], v192
	ds_load_b128 v[12:15], v192 offset:34080
	v_cmp_gt_u16_e64 s0, 30, v199
	s_delay_alu instid0(VALU_DEP_1)
	s_and_saveexec_b32 s1, s0
	s_cbranch_execz .LBB0_9
; %bb.8:
	ds_load_b128 v[48:51], v192 offset:23520
	ds_load_b128 v[44:47], v192 offset:11520
	;; [unrolled: 1-line block ×3, first 2 shown]
.LBB0_9:
	s_or_b32 exec_lo, exec_lo, s1
	v_and_b32_e32 v120, 0xff, v199
	v_and_b32_e32 v124, 0xffff, v194
	v_add_co_u32 v160, s1, 0x10e, v199
	s_delay_alu instid0(VALU_DEP_1) | instskip(NEXT) | instid1(VALU_DEP_4)
	v_add_co_ci_u32_e64 v161, null, 0, 0, s1
	v_mul_lo_u16 v120, 0xcd, v120
	s_delay_alu instid0(VALU_DEP_3) | instskip(SKIP_2) | instid1(VALU_DEP_4)
	v_and_b32_e32 v123, 0xffff, v160
	v_add_co_u32 v162, s1, 0x168, v199
	v_add_nc_u16 v182, v199, 0x1c2
	v_lshrrev_b16 v125, 11, v120
	v_add_co_u32 v190, null, 0x21c, v199
	s_delay_alu instid0(VALU_DEP_4) | instskip(SKIP_1) | instid1(VALU_DEP_3)
	v_and_b32_e32 v122, 0xffff, v162
	s_mov_b32 s10, 0xe8584caa
	v_mul_lo_u16 v120, v125, 10
	s_mov_b32 s11, 0x3febb67a
	s_mov_b32 s13, 0xbfebb67a
	;; [unrolled: 1-line block ×3, first 2 shown]
	v_add_co_ci_u32_e64 v163, null, 0, 0, s1
	v_sub_nc_u16 v120, v199, v120
	s_delay_alu instid0(VALU_DEP_1) | instskip(NEXT) | instid1(VALU_DEP_1)
	v_and_b32_e32 v126, 0xff, v120
	v_lshlrev_b32_e32 v120, 5, v126
	s_clause 0x1
	global_load_b128 v[127:130], v120, s[2:3]
	global_load_b128 v[131:134], v120, s[2:3] offset:16
	s_waitcnt vmcnt(1) lgkmcnt(5)
	v_mul_f64 v[120:121], v[118:119], v[129:130]
	scratch_store_b128 off, v[127:130], off offset:488 ; 16-byte Folded Spill
	s_waitcnt vmcnt(0)
	scratch_store_b128 off, v[131:134], off offset:584 ; 16-byte Folded Spill
	v_fma_f64 v[120:121], v[116:117], v[127:128], -v[120:121]
	v_mul_f64 v[116:117], v[116:117], v[129:130]
	s_delay_alu instid0(VALU_DEP_1) | instskip(SKIP_3) | instid1(VALU_DEP_2)
	v_fma_f64 v[116:117], v[118:119], v[127:128], v[116:117]
	s_waitcnt lgkmcnt(3)
	v_mul_f64 v[118:119], v[114:115], v[133:134]
	v_and_b32_e32 v127, 0xff, v195
	v_fma_f64 v[118:119], v[112:113], v[131:132], -v[118:119]
	v_mul_f64 v[112:113], v[112:113], v[133:134]
	s_delay_alu instid0(VALU_DEP_1) | instskip(NEXT) | instid1(VALU_DEP_4)
	v_fma_f64 v[114:115], v[114:115], v[131:132], v[112:113]
	v_mul_lo_u16 v112, 0xcd, v127
	s_delay_alu instid0(VALU_DEP_1) | instskip(NEXT) | instid1(VALU_DEP_1)
	v_lshrrev_b16 v128, 11, v112
	v_mul_lo_u16 v112, v128, 10
	s_delay_alu instid0(VALU_DEP_1) | instskip(NEXT) | instid1(VALU_DEP_1)
	v_sub_nc_u16 v112, v195, v112
	v_and_b32_e32 v129, 0xff, v112
	s_delay_alu instid0(VALU_DEP_1)
	v_lshlrev_b32_e32 v112, 5, v129
	s_clause 0x1
	global_load_b128 v[130:133], v112, s[2:3]
	global_load_b128 v[134:137], v112, s[2:3] offset:16
	s_waitcnt vmcnt(1)
	v_mul_f64 v[112:113], v[102:103], v[132:133]
	scratch_store_b128 off, v[130:133], off offset:600 ; 16-byte Folded Spill
	s_waitcnt vmcnt(0)
	scratch_store_b128 off, v[134:137], off offset:616 ; 16-byte Folded Spill
	v_fma_f64 v[112:113], v[100:101], v[130:131], -v[112:113]
	v_mul_f64 v[100:101], v[100:101], v[132:133]
	s_delay_alu instid0(VALU_DEP_1) | instskip(SKIP_1) | instid1(VALU_DEP_1)
	v_fma_f64 v[100:101], v[102:103], v[130:131], v[100:101]
	v_mul_f64 v[102:103], v[98:99], v[136:137]
	v_fma_f64 v[102:103], v[96:97], v[134:135], -v[102:103]
	v_mul_f64 v[96:97], v[96:97], v[136:137]
	s_delay_alu instid0(VALU_DEP_1) | instskip(SKIP_1) | instid1(VALU_DEP_1)
	v_fma_f64 v[96:97], v[98:99], v[134:135], v[96:97]
	v_mul_u32_u24_e32 v98, 0xcccd, v124
	v_lshrrev_b32_e32 v130, 19, v98
	s_delay_alu instid0(VALU_DEP_1) | instskip(NEXT) | instid1(VALU_DEP_1)
	v_mul_lo_u16 v98, v130, 10
	v_sub_nc_u16 v131, v194, v98
	s_delay_alu instid0(VALU_DEP_1) | instskip(NEXT) | instid1(VALU_DEP_1)
	v_lshlrev_b16 v98, 1, v131
	v_and_b32_e32 v98, 0xffff, v98
	s_delay_alu instid0(VALU_DEP_1)
	v_lshlrev_b32_e32 v98, 4, v98
	s_clause 0x1
	global_load_b128 v[132:135], v98, s[2:3]
	global_load_b128 v[136:139], v98, s[2:3] offset:16
	s_waitcnt vmcnt(1)
	v_mul_f64 v[98:99], v[94:95], v[134:135]
	scratch_store_b128 off, v[132:135], off offset:632 ; 16-byte Folded Spill
	s_waitcnt vmcnt(0)
	scratch_store_b128 off, v[136:139], off offset:648 ; 16-byte Folded Spill
	v_fma_f64 v[98:99], v[92:93], v[132:133], -v[98:99]
	v_mul_f64 v[92:93], v[92:93], v[134:135]
	s_delay_alu instid0(VALU_DEP_1) | instskip(SKIP_1) | instid1(VALU_DEP_1)
	v_fma_f64 v[92:93], v[94:95], v[132:133], v[92:93]
	v_mul_f64 v[94:95], v[2:3], v[138:139]
	v_fma_f64 v[94:95], v[0:1], v[136:137], -v[94:95]
	v_mul_f64 v[0:1], v[0:1], v[138:139]
	s_delay_alu instid0(VALU_DEP_1) | instskip(SKIP_1) | instid1(VALU_DEP_1)
	v_fma_f64 v[0:1], v[2:3], v[136:137], v[0:1]
	v_mul_u32_u24_e32 v2, 0xcccd, v123
	v_lshrrev_b32_e32 v181, 19, v2
	s_delay_alu instid0(VALU_DEP_1) | instskip(NEXT) | instid1(VALU_DEP_1)
	v_mul_lo_u16 v2, v181, 10
	v_sub_nc_u16 v183, v160, v2
	s_delay_alu instid0(VALU_DEP_1) | instskip(NEXT) | instid1(VALU_DEP_1)
	v_lshlrev_b16 v2, 1, v183
	;; [unrolled: 27-line block ×3, first 2 shown]
	v_and_b32_e32 v2, 0xffff, v2
	s_delay_alu instid0(VALU_DEP_1)
	v_lshlrev_b32_e32 v2, 4, v2
	s_clause 0x1
	global_load_b128 v[8:11], v2, s[2:3]
	global_load_b128 v[4:7], v2, s[2:3] offset:16
	s_waitcnt vmcnt(1)
	v_mul_f64 v[2:3], v[30:31], v[10:11]
	scratch_store_b128 off, v[8:11], off offset:1120 ; 16-byte Folded Spill
	s_waitcnt vmcnt(0)
	scratch_store_b128 off, v[4:7], off offset:1104 ; 16-byte Folded Spill
	v_fma_f64 v[140:141], v[28:29], v[8:9], -v[2:3]
	v_mul_f64 v[2:3], v[28:29], v[10:11]
	s_delay_alu instid0(VALU_DEP_1) | instskip(SKIP_1) | instid1(VALU_DEP_1)
	v_fma_f64 v[28:29], v[30:31], v[8:9], v[2:3]
	v_mul_f64 v[2:3], v[26:27], v[6:7]
	v_fma_f64 v[30:31], v[24:25], v[4:5], -v[2:3]
	v_mul_f64 v[2:3], v[24:25], v[6:7]
	s_delay_alu instid0(VALU_DEP_1) | instskip(SKIP_1) | instid1(VALU_DEP_1)
	v_fma_f64 v[24:25], v[26:27], v[4:5], v[2:3]
	v_and_b32_e32 v2, 0xffff, v182
	v_mul_u32_u24_e32 v2, 0xcccd, v2
	s_delay_alu instid0(VALU_DEP_1) | instskip(NEXT) | instid1(VALU_DEP_1)
	v_lshrrev_b32_e32 v186, 19, v2
	v_mul_lo_u16 v2, v186, 10
	s_delay_alu instid0(VALU_DEP_1) | instskip(NEXT) | instid1(VALU_DEP_1)
	v_sub_nc_u16 v187, v182, v2
	v_lshlrev_b16 v2, 1, v187
	s_delay_alu instid0(VALU_DEP_1) | instskip(NEXT) | instid1(VALU_DEP_1)
	v_and_b32_e32 v2, 0xffff, v2
	v_lshlrev_b32_e32 v2, 4, v2
	s_clause 0x1
	global_load_b128 v[8:11], v2, s[2:3]
	global_load_b128 v[4:7], v2, s[2:3] offset:16
	s_waitcnt vmcnt(1)
	v_mul_f64 v[2:3], v[42:43], v[10:11]
	scratch_store_b128 off, v[8:11], off offset:1200 ; 16-byte Folded Spill
	s_waitcnt vmcnt(0)
	scratch_store_b128 off, v[4:7], off offset:1184 ; 16-byte Folded Spill
	v_fma_f64 v[26:27], v[40:41], v[8:9], -v[2:3]
	v_mul_f64 v[2:3], v[40:41], v[10:11]
	s_delay_alu instid0(VALU_DEP_1) | instskip(SKIP_1) | instid1(VALU_DEP_1)
	v_fma_f64 v[40:41], v[42:43], v[8:9], v[2:3]
	v_mul_f64 v[2:3], v[34:35], v[6:7]
	v_fma_f64 v[42:43], v[32:33], v[4:5], -v[2:3]
	v_mul_f64 v[2:3], v[32:33], v[6:7]
	s_delay_alu instid0(VALU_DEP_1) | instskip(SKIP_1) | instid1(VALU_DEP_1)
	v_fma_f64 v[32:33], v[34:35], v[4:5], v[2:3]
	v_and_b32_e32 v2, 0xffff, v190
	v_mul_u32_u24_e32 v2, 0xcccd, v2
	s_delay_alu instid0(VALU_DEP_1) | instskip(NEXT) | instid1(VALU_DEP_1)
	v_lshrrev_b32_e32 v188, 19, v2
	v_mul_lo_u16 v2, v188, 10
	s_delay_alu instid0(VALU_DEP_1) | instskip(NEXT) | instid1(VALU_DEP_1)
	v_sub_nc_u16 v189, v190, v2
	v_lshlrev_b16 v2, 1, v189
	s_delay_alu instid0(VALU_DEP_1) | instskip(NEXT) | instid1(VALU_DEP_1)
	v_and_b32_e32 v2, 0xffff, v2
	v_lshlrev_b32_e32 v2, 4, v2
	s_clause 0x1
	global_load_b128 v[8:11], v2, s[2:3]
	global_load_b128 v[4:7], v2, s[2:3] offset:16
	s_waitcnt vmcnt(1)
	v_mul_f64 v[2:3], v[38:39], v[10:11]
	scratch_store_b128 off, v[8:11], off offset:1248 ; 16-byte Folded Spill
	s_waitcnt vmcnt(0)
	scratch_store_b128 off, v[4:7], off offset:1216 ; 16-byte Folded Spill
	v_fma_f64 v[34:35], v[36:37], v[8:9], -v[2:3]
	v_mul_f64 v[2:3], v[36:37], v[10:11]
	v_add_nc_u16 v11, v199, 0x276
	v_add_nc_u16 v10, v199, 0x2d0
	s_delay_alu instid0(VALU_DEP_3) | instskip(SKIP_1) | instid1(VALU_DEP_1)
	v_fma_f64 v[36:37], v[38:39], v[8:9], v[2:3]
	v_mul_f64 v[2:3], v[18:19], v[6:7]
	v_fma_f64 v[38:39], v[16:17], v[4:5], -v[2:3]
	v_mul_f64 v[2:3], v[16:17], v[6:7]
	s_delay_alu instid0(VALU_DEP_1) | instskip(SKIP_1) | instid1(VALU_DEP_1)
	v_fma_f64 v[16:17], v[18:19], v[4:5], v[2:3]
	v_and_b32_e32 v2, 0xffff, v11
	v_mul_u32_u24_e32 v2, 0xcccd, v2
	s_delay_alu instid0(VALU_DEP_1) | instskip(NEXT) | instid1(VALU_DEP_1)
	v_lshrrev_b32_e32 v191, 19, v2
	v_mul_lo_u16 v2, v191, 10
	s_delay_alu instid0(VALU_DEP_1) | instskip(NEXT) | instid1(VALU_DEP_1)
	v_sub_nc_u16 v196, v11, v2
	v_lshlrev_b16 v2, 1, v196
	s_delay_alu instid0(VALU_DEP_1) | instskip(NEXT) | instid1(VALU_DEP_1)
	v_and_b32_e32 v2, 0xffff, v2
	v_lshlrev_b32_e32 v2, 4, v2
	s_clause 0x1
	global_load_b128 v[142:145], v2, s[2:3]
	global_load_b128 v[4:7], v2, s[2:3] offset:16
	s_waitcnt vmcnt(1) lgkmcnt(2)
	v_mul_f64 v[2:3], v[22:23], v[144:145]
	scratch_store_b128 off, v[142:145], off offset:1232 ; 16-byte Folded Spill
	s_waitcnt vmcnt(0)
	scratch_store_b128 off, v[4:7], off offset:1152 ; 16-byte Folded Spill
	v_fma_f64 v[18:19], v[20:21], v[142:143], -v[2:3]
	v_mul_f64 v[2:3], v[20:21], v[144:145]
	s_delay_alu instid0(VALU_DEP_1) | instskip(SKIP_2) | instid1(VALU_DEP_1)
	v_fma_f64 v[20:21], v[22:23], v[142:143], v[2:3]
	s_waitcnt lgkmcnt(0)
	v_mul_f64 v[2:3], v[14:15], v[6:7]
	v_fma_f64 v[22:23], v[12:13], v[4:5], -v[2:3]
	v_mul_f64 v[2:3], v[12:13], v[6:7]
	s_delay_alu instid0(VALU_DEP_1) | instskip(SKIP_2) | instid1(VALU_DEP_2)
	v_fma_f64 v[12:13], v[14:15], v[4:5], v[2:3]
	v_and_b32_e32 v2, 0xffff, v10
	v_add_f64 v[14:15], v[120:121], v[118:119]
	v_mul_u32_u24_e32 v2, 0xcccd, v2
	s_delay_alu instid0(VALU_DEP_1) | instskip(NEXT) | instid1(VALU_DEP_1)
	v_lshrrev_b32_e32 v197, 19, v2
	v_mul_lo_u16 v2, v197, 10
	s_delay_alu instid0(VALU_DEP_1) | instskip(NEXT) | instid1(VALU_DEP_1)
	v_sub_nc_u16 v198, v10, v2
	v_lshlrev_b16 v2, 1, v198
	s_delay_alu instid0(VALU_DEP_1) | instskip(NEXT) | instid1(VALU_DEP_1)
	v_and_b32_e32 v2, 0xffff, v2
	v_lshlrev_b32_e32 v2, 4, v2
	s_clause 0x1
	global_load_b128 v[6:9], v2, s[2:3]
	global_load_b128 v[142:145], v2, s[2:3] offset:16
	v_fma_f64 v[14:15], v[14:15], -0.5, v[88:89]
	s_waitcnt vmcnt(1)
	v_mul_f64 v[2:3], v[50:51], v[8:9]
	v_mul_f64 v[4:5], v[48:49], v[8:9]
	scratch_store_b128 off, v[6:9], off offset:1168 ; 16-byte Folded Spill
	s_waitcnt vmcnt(0)
	scratch_store_b128 off, v[142:145], off offset:1136 ; 16-byte Folded Spill
	s_waitcnt_vscnt null, 0x0
	s_barrier
	buffer_gl0_inv
	v_fma_f64 v[2:3], v[48:49], v[6:7], -v[2:3]
	v_fma_f64 v[8:9], v[50:51], v[6:7], v[4:5]
	v_mul_f64 v[4:5], v[54:55], v[144:145]
	v_mul_f64 v[6:7], v[52:53], v[144:145]
	v_add_f64 v[48:49], v[116:117], v[114:115]
	s_delay_alu instid0(VALU_DEP_3) | instskip(NEXT) | instid1(VALU_DEP_3)
	v_fma_f64 v[4:5], v[52:53], v[142:143], -v[4:5]
	v_fma_f64 v[6:7], v[54:55], v[142:143], v[6:7]
	s_delay_alu instid0(VALU_DEP_3) | instskip(SKIP_3) | instid1(VALU_DEP_3)
	v_fma_f64 v[52:53], v[48:49], -0.5, v[90:91]
	v_add_f64 v[48:49], v[90:91], v[116:117]
	v_add_f64 v[54:55], v[88:89], v[120:121]
	v_add_f64 v[90:91], v[116:117], -v[114:115]
	v_add_f64 v[50:51], v[48:49], v[114:115]
	s_delay_alu instid0(VALU_DEP_3) | instskip(SKIP_1) | instid1(VALU_DEP_4)
	v_add_f64 v[48:49], v[54:55], v[118:119]
	v_add_f64 v[54:55], v[120:121], -v[118:119]
	v_fma_f64 v[88:89], v[90:91], s[10:11], v[14:15]
	v_fma_f64 v[114:115], v[90:91], s[12:13], v[14:15]
	v_add_f64 v[14:15], v[112:113], v[102:103]
	v_add_f64 v[118:119], v[100:101], -v[96:97]
	v_fma_f64 v[90:91], v[54:55], s[12:13], v[52:53]
	v_fma_f64 v[116:117], v[54:55], s[10:11], v[52:53]
	v_add_f64 v[52:53], v[100:101], v[96:97]
	v_add_f64 v[54:55], v[82:83], v[100:101]
	v_fma_f64 v[14:15], v[14:15], -0.5, v[80:81]
	v_add_f64 v[80:81], v[80:81], v[112:113]
	s_delay_alu instid0(VALU_DEP_4) | instskip(NEXT) | instid1(VALU_DEP_4)
	v_fma_f64 v[52:53], v[52:53], -0.5, v[82:83]
	v_add_f64 v[82:83], v[54:55], v[96:97]
	v_add_f64 v[54:55], v[112:113], -v[102:103]
	s_delay_alu instid0(VALU_DEP_4)
	v_add_f64 v[80:81], v[80:81], v[102:103]
	v_fma_f64 v[100:101], v[118:119], s[10:11], v[14:15]
	v_fma_f64 v[118:119], v[118:119], s[12:13], v[14:15]
	v_add_f64 v[14:15], v[98:99], v[94:95]
	v_add_f64 v[96:97], v[92:93], -v[0:1]
	v_add_f64 v[112:113], v[134:135], -v[138:139]
	v_fma_f64 v[102:103], v[54:55], s[12:13], v[52:53]
	v_fma_f64 v[120:121], v[54:55], s[10:11], v[52:53]
	v_add_f64 v[52:53], v[92:93], v[0:1]
	v_add_f64 v[54:55], v[78:79], v[92:93]
	v_fma_f64 v[14:15], v[14:15], -0.5, v[76:77]
	v_add_f64 v[76:77], v[76:77], v[98:99]
	s_delay_alu instid0(VALU_DEP_4) | instskip(NEXT) | instid1(VALU_DEP_4)
	v_fma_f64 v[52:53], v[52:53], -0.5, v[78:79]
	v_add_f64 v[78:79], v[54:55], v[0:1]
	v_add_f64 v[0:1], v[98:99], -v[94:95]
	s_delay_alu instid0(VALU_DEP_4)
	v_add_f64 v[76:77], v[76:77], v[94:95]
	v_fma_f64 v[92:93], v[96:97], s[10:11], v[14:15]
	v_fma_f64 v[96:97], v[96:97], s[12:13], v[14:15]
	v_add_f64 v[14:15], v[134:135], v[138:139]
	v_add_f64 v[54:55], v[72:73], v[132:133]
	v_fma_f64 v[94:95], v[0:1], s[12:13], v[52:53]
	v_fma_f64 v[98:99], v[0:1], s[10:11], v[52:53]
	v_add_f64 v[0:1], v[132:133], v[136:137]
	v_add_f64 v[52:53], v[74:75], v[134:135]
	v_fma_f64 v[14:15], v[14:15], -0.5, v[74:75]
	s_delay_alu instid0(VALU_DEP_3) | instskip(NEXT) | instid1(VALU_DEP_3)
	v_fma_f64 v[0:1], v[0:1], -0.5, v[72:73]
	v_add_f64 v[74:75], v[52:53], v[138:139]
	v_add_f64 v[72:73], v[54:55], v[136:137]
	v_add_f64 v[52:53], v[132:133], -v[136:137]
	v_add_f64 v[54:55], v[68:69], v[140:141]
	v_fma_f64 v[132:133], v[112:113], s[10:11], v[0:1]
	v_fma_f64 v[136:137], v[112:113], s[12:13], v[0:1]
	v_add_f64 v[0:1], v[140:141], v[30:31]
	v_fma_f64 v[134:135], v[52:53], s[12:13], v[14:15]
	v_fma_f64 v[138:139], v[52:53], s[10:11], v[14:15]
	v_add_f64 v[14:15], v[28:29], v[24:25]
	v_add_f64 v[52:53], v[70:71], v[28:29]
	v_add_f64 v[28:29], v[28:29], -v[24:25]
	v_fma_f64 v[0:1], v[0:1], -0.5, v[68:69]
	v_add_f64 v[68:69], v[54:55], v[30:31]
	v_fma_f64 v[14:15], v[14:15], -0.5, v[70:71]
	v_add_f64 v[70:71], v[52:53], v[24:25]
	v_add_f64 v[24:25], v[140:141], -v[30:31]
	v_add_f64 v[30:31], v[40:41], -v[32:33]
	v_fma_f64 v[140:141], v[28:29], s[10:11], v[0:1]
	v_fma_f64 v[144:145], v[28:29], s[12:13], v[0:1]
	v_add_f64 v[0:1], v[26:27], v[42:43]
	v_add_f64 v[28:29], v[64:65], v[26:27]
	v_fma_f64 v[142:143], v[24:25], s[12:13], v[14:15]
	v_fma_f64 v[146:147], v[24:25], s[10:11], v[14:15]
	v_add_f64 v[14:15], v[40:41], v[32:33]
	v_add_f64 v[24:25], v[66:67], v[40:41]
	v_fma_f64 v[0:1], v[0:1], -0.5, v[64:65]
	v_add_f64 v[148:149], v[28:29], v[42:43]
	v_add_f64 v[28:29], v[36:37], -v[16:17]
	v_fma_f64 v[14:15], v[14:15], -0.5, v[66:67]
	v_add_f64 v[150:151], v[24:25], v[32:33]
	v_add_f64 v[24:25], v[26:27], -v[42:43]
	v_add_f64 v[26:27], v[60:61], v[34:35]
	v_fma_f64 v[152:153], v[30:31], s[10:11], v[0:1]
	v_fma_f64 v[156:157], v[30:31], s[12:13], v[0:1]
	v_add_f64 v[0:1], v[34:35], v[38:39]
	v_fma_f64 v[154:155], v[24:25], s[12:13], v[14:15]
	v_fma_f64 v[158:159], v[24:25], s[10:11], v[14:15]
	v_add_f64 v[14:15], v[36:37], v[16:17]
	v_add_f64 v[24:25], v[62:63], v[36:37]
	v_fma_f64 v[0:1], v[0:1], -0.5, v[60:61]
	v_add_f64 v[60:61], v[26:27], v[38:39]
	s_delay_alu instid0(VALU_DEP_4) | instskip(NEXT) | instid1(VALU_DEP_4)
	v_fma_f64 v[14:15], v[14:15], -0.5, v[62:63]
	v_add_f64 v[62:63], v[24:25], v[16:17]
	v_add_f64 v[16:17], v[34:35], -v[38:39]
	v_add_f64 v[24:25], v[56:57], v[18:19]
	v_fma_f64 v[165:166], v[28:29], s[10:11], v[0:1]
	v_fma_f64 v[169:170], v[28:29], s[12:13], v[0:1]
	v_add_f64 v[0:1], v[18:19], v[22:23]
	v_fma_f64 v[167:168], v[16:17], s[12:13], v[14:15]
	v_fma_f64 v[171:172], v[16:17], s[10:11], v[14:15]
	v_add_f64 v[14:15], v[20:21], v[12:13]
	v_add_f64 v[16:17], v[58:59], v[20:21]
	v_add_f64 v[20:21], v[20:21], -v[12:13]
	v_fma_f64 v[0:1], v[0:1], -0.5, v[56:57]
	v_add_f64 v[56:57], v[24:25], v[22:23]
	v_fma_f64 v[14:15], v[14:15], -0.5, v[58:59]
	v_add_f64 v[58:59], v[16:17], v[12:13]
	v_add_f64 v[12:13], v[18:19], -v[22:23]
	v_fma_f64 v[173:174], v[20:21], s[10:11], v[0:1]
	v_fma_f64 v[177:178], v[20:21], s[12:13], v[0:1]
	v_add_f64 v[0:1], v[2:3], v[4:5]
	s_delay_alu instid0(VALU_DEP_4) | instskip(SKIP_4) | instid1(VALU_DEP_3)
	v_fma_f64 v[175:176], v[12:13], s[12:13], v[14:15]
	v_fma_f64 v[179:180], v[12:13], s[10:11], v[14:15]
	v_add_f64 v[12:13], v[8:9], v[6:7]
	v_add_f64 v[14:15], v[8:9], -v[6:7]
	v_fma_f64 v[0:1], v[0:1], -0.5, v[44:45]
	v_fma_f64 v[12:13], v[12:13], -0.5, v[46:47]
	s_delay_alu instid0(VALU_DEP_2) | instskip(SKIP_2) | instid1(VALU_DEP_1)
	v_fma_f64 v[52:53], v[14:15], s[10:11], v[0:1]
	v_fma_f64 v[64:65], v[14:15], s[12:13], v[0:1]
	v_add_f64 v[0:1], v[2:3], -v[4:5]
	v_fma_f64 v[54:55], v[0:1], s[12:13], v[12:13]
	v_fma_f64 v[66:67], v[0:1], s[10:11], v[12:13]
	v_and_b32_e32 v0, 0xffff, v125
	s_delay_alu instid0(VALU_DEP_1) | instskip(NEXT) | instid1(VALU_DEP_1)
	v_mul_u32_u24_e32 v0, 30, v0
	v_add_lshl_u32 v0, v0, v126, 4
	ds_store_b128 v0, v[48:51]
	ds_store_b128 v0, v[88:91] offset:160
	scratch_store_b32 off, v0, off offset:760 ; 4-byte Folded Spill
	ds_store_b128 v0, v[114:117] offset:320
	v_and_b32_e32 v0, 0xffff, v128
	s_delay_alu instid0(VALU_DEP_1) | instskip(NEXT) | instid1(VALU_DEP_1)
	v_mul_u32_u24_e32 v0, 30, v0
	v_add_lshl_u32 v0, v0, v129, 4
	ds_store_b128 v0, v[80:83]
	ds_store_b128 v0, v[100:103] offset:160
	scratch_store_b32 off, v0, off offset:724 ; 4-byte Folded Spill
	ds_store_b128 v0, v[118:121] offset:320
	v_mad_u16 v0, v130, 30, v131
	s_delay_alu instid0(VALU_DEP_1) | instskip(NEXT) | instid1(VALU_DEP_1)
	v_and_b32_e32 v0, 0xffff, v0
	v_lshlrev_b32_e32 v0, 4, v0
	ds_store_b128 v0, v[76:79]
	ds_store_b128 v0, v[92:95] offset:160
	scratch_store_b32 off, v0, off offset:720 ; 4-byte Folded Spill
	ds_store_b128 v0, v[96:99] offset:320
	v_mad_u16 v0, v181, 30, v183
	s_delay_alu instid0(VALU_DEP_1) | instskip(NEXT) | instid1(VALU_DEP_1)
	v_and_b32_e32 v0, 0xffff, v0
	v_lshlrev_b32_e32 v0, 4, v0
	;; [unrolled: 8-line block ×6, first 2 shown]
	ds_store_b128 v0, v[56:59]
	ds_store_b128 v0, v[173:176] offset:160
	scratch_store_b32 off, v0, off offset:668 ; 4-byte Folded Spill
	ds_store_b128 v0, v[177:180] offset:320
	v_mad_u16 v0, v197, 30, v198
	scratch_store_b32 off, v0, off offset:664 ; 4-byte Folded Spill
	s_and_saveexec_b32 s1, s0
	s_cbranch_execz .LBB0_11
; %bb.10:
	v_add_f64 v[0:1], v[46:47], v[8:9]
	v_add_f64 v[8:9], v[44:45], v[2:3]
	s_delay_alu instid0(VALU_DEP_2) | instskip(NEXT) | instid1(VALU_DEP_2)
	v_add_f64 v[2:3], v[0:1], v[6:7]
	v_add_f64 v[0:1], v[8:9], v[4:5]
	scratch_load_b32 v4, off, off offset:664 ; 4-byte Folded Reload
	s_waitcnt vmcnt(0)
	v_and_b32_e32 v4, 0xffff, v4
	s_delay_alu instid0(VALU_DEP_1)
	v_lshlrev_b32_e32 v4, 4, v4
	ds_store_b128 v4, v[0:3]
	ds_store_b128 v4, v[52:55] offset:160
	ds_store_b128 v4, v[64:67] offset:320
.LBB0_11:
	s_or_b32 exec_lo, exec_lo, s1
	v_mul_lo_u16 v0, 0x89, v127
	v_and_b32_e32 v1, 0xff, v199
	s_waitcnt lgkmcnt(0)
	s_waitcnt_vscnt null, 0x0
	s_barrier
	buffer_gl0_inv
	v_lshrrev_b16 v4, 12, v0
	v_mul_lo_u16 v1, 0x89, v1
	s_mov_b32 s14, 0x134454ff
	s_mov_b32 s15, 0x3fee6f0e
	;; [unrolled: 1-line block ×3, first 2 shown]
	v_mul_lo_u16 v0, v4, 30
	v_lshrrev_b16 v6, 12, v1
	s_mov_b32 s16, s14
	s_mov_b32 s10, 0x4755a5e
	;; [unrolled: 1-line block ×3, first 2 shown]
	v_sub_nc_u16 v0, v195, v0
	v_mul_lo_u16 v1, v6, 30
	s_mov_b32 s13, 0xbfe2cf23
	s_mov_b32 s12, s10
	;; [unrolled: 1-line block ×3, first 2 shown]
	v_and_b32_e32 v5, 0xff, v0
	v_sub_nc_u16 v1, v199, v1
	s_mov_b32 s19, 0x3fd3c6ef
	v_and_b32_e32 v6, 0xffff, v6
	v_and_b32_e32 v4, 0xffff, v4
	v_lshlrev_b32_e32 v0, 6, v5
	v_and_b32_e32 v7, 0xff, v1
	s_delay_alu instid0(VALU_DEP_4) | instskip(NEXT) | instid1(VALU_DEP_4)
	v_mul_u32_u24_e32 v6, 0x96, v6
	v_mul_u32_u24_e32 v4, 0x96, v4
	s_clause 0x1
	global_load_b128 v[20:23], v0, s[2:3] offset:320
	global_load_b128 v[26:29], v0, s[2:3] offset:336
	v_lshlrev_b32_e32 v1, 6, v7
	s_clause 0x4
	global_load_b128 v[32:35], v0, s[2:3] offset:352
	global_load_b128 v[36:39], v0, s[2:3] offset:368
	;; [unrolled: 1-line block ×5, first 2 shown]
	v_mul_u32_u24_e32 v0, 0x8889, v124
	global_load_b128 v[137:140], v1, s[2:3] offset:368
	v_add_lshl_u32 v6, v6, v7, 4
	v_add_lshl_u32 v4, v4, v5, 4
	v_lshrrev_b32_e32 v8, 20, v0
	s_delay_alu instid0(VALU_DEP_1) | instskip(NEXT) | instid1(VALU_DEP_1)
	v_mul_lo_u16 v0, v8, 30
	v_sub_nc_u16 v9, v194, v0
	s_delay_alu instid0(VALU_DEP_1) | instskip(NEXT) | instid1(VALU_DEP_1)
	v_lshlrev_b16 v0, 6, v9
	v_and_b32_e32 v0, 0xffff, v0
	s_delay_alu instid0(VALU_DEP_1) | instskip(NEXT) | instid1(VALU_DEP_1)
	v_add_co_u32 v88, s1, s2, v0
	v_add_co_ci_u32_e64 v89, null, s3, 0, s1
	s_clause 0x1
	global_load_b128 v[129:132], v[88:89], off offset:320
	global_load_b128 v[133:136], v[88:89], off offset:336
	ds_load_b128 v[80:83], v192 offset:8640
	ds_load_b128 v[76:79], v192 offset:15840
	;; [unrolled: 1-line block ×10, first 2 shown]
	s_waitcnt vmcnt(9) lgkmcnt(9)
	v_mul_f64 v[90:91], v[82:83], v[22:23]
	s_waitcnt vmcnt(8) lgkmcnt(8)
	v_mul_f64 v[94:95], v[78:79], v[28:29]
	v_mul_f64 v[96:97], v[76:77], v[28:29]
	;; [unrolled: 1-line block ×3, first 2 shown]
	s_waitcnt vmcnt(7) lgkmcnt(7)
	v_mul_f64 v[98:99], v[70:71], v[34:35]
	v_mul_f64 v[100:101], v[68:69], v[34:35]
	s_waitcnt vmcnt(6) lgkmcnt(5)
	v_mul_f64 v[12:13], v[74:75], v[38:39]
	v_mul_f64 v[14:15], v[72:73], v[38:39]
	s_waitcnt vmcnt(5) lgkmcnt(4)
	v_mul_f64 v[16:17], v[58:59], v[42:43]
	s_clause 0x1
	scratch_store_b128 off, v[20:23], off offset:404
	scratch_store_b128 off, v[36:39], off offset:420
	v_mul_f64 v[22:23], v[56:57], v[42:43]
	s_clause 0x1
	scratch_store_b128 off, v[26:29], off offset:452
	scratch_store_b128 off, v[32:35], off offset:436
	s_waitcnt vmcnt(4) lgkmcnt(3)
	v_mul_f64 v[28:29], v[50:51], v[118:119]
	v_mul_f64 v[34:35], v[48:49], v[118:119]
	s_clause 0x1
	scratch_store_b128 off, v[40:43], off offset:468
	scratch_store_b128 off, v[116:119], off offset:504
	s_waitcnt vmcnt(2) lgkmcnt(1)
	v_mul_f64 v[42:43], v[60:61], v[139:140]
	s_clause 0x1
	scratch_store_b128 off, v[125:128], off offset:520
	scratch_store_b128 off, v[137:140], off offset:568
	v_fma_f64 v[18:19], v[80:81], v[20:21], -v[90:91]
	v_fma_f64 v[24:25], v[76:77], v[26:27], -v[94:95]
	v_fma_f64 v[26:27], v[78:79], v[26:27], v[96:97]
	ds_load_b128 v[76:79], v192 offset:21600
	v_fma_f64 v[30:31], v[68:69], v[32:33], -v[98:99]
	v_fma_f64 v[32:33], v[70:71], v[32:33], v[100:101]
	ds_load_b128 v[68:71], v192 offset:20160
	v_fma_f64 v[12:13], v[72:73], v[36:37], -v[12:13]
	v_fma_f64 v[14:15], v[74:75], v[36:37], v[14:15]
	v_fma_f64 v[16:17], v[56:57], v[40:41], -v[16:17]
	s_waitcnt vmcnt(1)
	v_mul_f64 v[56:57], v[2:3], v[131:132]
	v_fma_f64 v[22:23], v[58:59], v[40:41], v[22:23]
	v_mul_f64 v[58:59], v[0:1], v[131:132]
	v_mul_f64 v[40:41], v[62:63], v[139:140]
	v_fma_f64 v[28:29], v[48:49], v[116:117], -v[28:29]
	v_fma_f64 v[34:35], v[50:51], v[116:117], v[34:35]
	ds_load_b128 v[48:51], v192 offset:17280
	scratch_store_b128 off, v[129:132], off offset:536 ; 16-byte Folded Spill
	s_waitcnt vmcnt(0)
	scratch_store_b128 off, v[133:136], off offset:552 ; 16-byte Folded Spill
	v_fma_f64 v[42:43], v[62:63], v[137:138], v[42:43]
	v_fma_f64 v[20:21], v[82:83], v[20:21], v[92:93]
	s_waitcnt lgkmcnt(2)
	v_mul_f64 v[36:37], v[78:79], v[127:128]
	v_mul_f64 v[38:39], v[76:77], v[127:128]
	v_fma_f64 v[120:121], v[0:1], v[129:130], -v[56:57]
	v_fma_f64 v[40:41], v[60:61], v[137:138], -v[40:41]
	s_delay_alu instid0(VALU_DEP_4) | instskip(NEXT) | instid1(VALU_DEP_4)
	v_fma_f64 v[36:37], v[76:77], v[125:126], -v[36:37]
	v_fma_f64 v[38:39], v[78:79], v[125:126], v[38:39]
	v_fma_f64 v[124:125], v[2:3], v[129:130], v[58:59]
	ds_load_b128 v[0:3], v192 offset:18720
	s_waitcnt lgkmcnt(1)
	v_mul_f64 v[56:57], v[50:51], v[135:136]
	v_add_f64 v[76:77], v[28:29], -v[36:37]
	s_delay_alu instid0(VALU_DEP_2) | instskip(SKIP_4) | instid1(VALU_DEP_1)
	v_fma_f64 v[126:127], v[48:49], v[133:134], -v[56:57]
	s_clause 0x1
	global_load_b128 v[60:63], v[88:89], off offset:352
	global_load_b128 v[56:59], v[88:89], off offset:368
	v_mul_f64 v[48:49], v[48:49], v[135:136]
	v_fma_f64 v[128:129], v[50:51], v[133:134], v[48:49]
	s_waitcnt vmcnt(1)
	v_mul_f64 v[48:49], v[46:47], v[62:63]
	scratch_store_b128 off, v[60:63], off offset:896 ; 16-byte Folded Spill
	s_waitcnt vmcnt(0)
	scratch_store_b128 off, v[56:59], off offset:880 ; 16-byte Folded Spill
	v_fma_f64 v[130:131], v[44:45], v[60:61], -v[48:49]
	v_mul_f64 v[44:45], v[44:45], v[62:63]
	s_delay_alu instid0(VALU_DEP_1) | instskip(SKIP_3) | instid1(VALU_DEP_1)
	v_fma_f64 v[132:133], v[46:47], v[60:61], v[44:45]
	ds_load_b128 v[44:47], v192 offset:31680
	s_waitcnt lgkmcnt(0)
	v_mul_f64 v[48:49], v[46:47], v[58:59]
	v_fma_f64 v[134:135], v[44:45], v[56:57], -v[48:49]
	v_mul_f64 v[44:45], v[44:45], v[58:59]
	s_delay_alu instid0(VALU_DEP_1) | instskip(SKIP_1) | instid1(VALU_DEP_1)
	v_fma_f64 v[136:137], v[46:47], v[56:57], v[44:45]
	v_mul_u32_u24_e32 v44, 0x8889, v123
	v_lshrrev_b32_e32 v177, 20, v44
	s_delay_alu instid0(VALU_DEP_1) | instskip(NEXT) | instid1(VALU_DEP_1)
	v_mul_lo_u16 v44, v177, 30
	v_sub_nc_u16 v178, v160, v44
	s_delay_alu instid0(VALU_DEP_1) | instskip(NEXT) | instid1(VALU_DEP_1)
	v_lshlrev_b16 v44, 6, v178
	v_and_b32_e32 v44, 0xffff, v44
	s_delay_alu instid0(VALU_DEP_1) | instskip(NEXT) | instid1(VALU_DEP_1)
	v_add_co_u32 v56, s1, s2, v44
	v_add_co_ci_u32_e64 v57, null, s3, 0, s1
	s_clause 0x1
	global_load_b128 v[72:75], v[56:57], off offset:320
	global_load_b128 v[60:63], v[56:57], off offset:336
	ds_load_b128 v[44:47], v192 offset:11520
	ds_load_b128 v[48:51], v192 offset:12960
	s_waitcnt vmcnt(1) lgkmcnt(1)
	v_mul_f64 v[58:59], v[46:47], v[74:75]
	scratch_store_b128 off, v[72:75], off offset:944 ; 16-byte Folded Spill
	s_waitcnt vmcnt(0)
	scratch_store_b128 off, v[60:63], off offset:912 ; 16-byte Folded Spill
	v_fma_f64 v[140:141], v[44:45], v[72:73], -v[58:59]
	v_mul_f64 v[44:45], v[44:45], v[74:75]
	s_delay_alu instid0(VALU_DEP_1) | instskip(SKIP_1) | instid1(VALU_DEP_1)
	v_fma_f64 v[142:143], v[46:47], v[72:73], v[44:45]
	v_mul_f64 v[44:45], v[2:3], v[62:63]
	v_fma_f64 v[144:145], v[0:1], v[60:61], -v[44:45]
	v_mul_f64 v[0:1], v[0:1], v[62:63]
	s_delay_alu instid0(VALU_DEP_1)
	v_fma_f64 v[146:147], v[2:3], v[60:61], v[0:1]
	s_clause 0x1
	global_load_b128 v[58:61], v[56:57], off offset:352
	global_load_b128 v[72:75], v[56:57], off offset:368
	ds_load_b128 v[0:3], v192 offset:25920
	ds_load_b128 v[44:47], v192 offset:27360
	s_waitcnt vmcnt(1) lgkmcnt(1)
	v_mul_f64 v[56:57], v[2:3], v[60:61]
	scratch_store_b128 off, v[58:61], off offset:960 ; 16-byte Folded Spill
	v_fma_f64 v[148:149], v[0:1], v[58:59], -v[56:57]
	v_mul_f64 v[0:1], v[0:1], v[60:61]
	s_delay_alu instid0(VALU_DEP_1)
	v_fma_f64 v[150:151], v[2:3], v[58:59], v[0:1]
	ds_load_b128 v[0:3], v192 offset:33120
	ds_load_b128 v[56:59], v192 offset:34560
	s_waitcnt vmcnt(0)
	scratch_store_b128 off, v[72:75], off offset:928 ; 16-byte Folded Spill
	s_waitcnt lgkmcnt(1)
	v_mul_f64 v[60:61], v[2:3], v[74:75]
	s_delay_alu instid0(VALU_DEP_1) | instskip(SKIP_1) | instid1(VALU_DEP_1)
	v_fma_f64 v[152:153], v[0:1], v[72:73], -v[60:61]
	v_mul_f64 v[0:1], v[0:1], v[74:75]
	v_fma_f64 v[154:155], v[2:3], v[72:73], v[0:1]
	v_mul_u32_u24_e32 v0, 0x8889, v122
	s_delay_alu instid0(VALU_DEP_1) | instskip(NEXT) | instid1(VALU_DEP_1)
	v_lshrrev_b32_e32 v179, 20, v0
	v_mul_lo_u16 v0, v179, 30
	s_delay_alu instid0(VALU_DEP_1) | instskip(NEXT) | instid1(VALU_DEP_1)
	v_sub_nc_u16 v180, v162, v0
	v_lshlrev_b16 v0, 6, v180
	s_delay_alu instid0(VALU_DEP_1) | instskip(NEXT) | instid1(VALU_DEP_1)
	v_and_b32_e32 v0, 0xffff, v0
	v_add_co_u32 v0, s1, s2, v0
	s_delay_alu instid0(VALU_DEP_1)
	v_add_co_ci_u32_e64 v1, null, s3, 0, s1
	s_clause 0x1
	global_load_b128 v[72:75], v[0:1], off offset:320
	global_load_b128 v[60:63], v[0:1], off offset:336
	s_waitcnt vmcnt(1)
	v_mul_f64 v[2:3], v[50:51], v[74:75]
	scratch_store_b128 off, v[72:75], off offset:1024 ; 16-byte Folded Spill
	s_waitcnt vmcnt(0)
	scratch_store_b128 off, v[60:63], off offset:992 ; 16-byte Folded Spill
	v_fma_f64 v[156:157], v[48:49], v[72:73], -v[2:3]
	v_mul_f64 v[2:3], v[48:49], v[74:75]
	v_add_f64 v[74:75], v[24:25], -v[30:31]
	s_delay_alu instid0(VALU_DEP_2) | instskip(SKIP_2) | instid1(VALU_DEP_2)
	v_fma_f64 v[158:159], v[50:51], v[72:73], v[2:3]
	v_mul_f64 v[2:3], v[70:71], v[62:63]
	v_add_f64 v[72:73], v[18:19], -v[12:13]
	v_fma_f64 v[165:166], v[68:69], v[60:61], -v[2:3]
	v_mul_f64 v[2:3], v[68:69], v[62:63]
	v_add_f64 v[68:69], v[20:21], -v[14:15]
	s_delay_alu instid0(VALU_DEP_2)
	v_fma_f64 v[167:168], v[70:71], v[60:61], v[2:3]
	s_clause 0x1
	global_load_b128 v[60:63], v[0:1], off offset:352
	global_load_b128 v[48:51], v[0:1], off offset:368
	v_add_f64 v[2:3], v[12:13], -v[30:31]
	v_add_f64 v[70:71], v[26:27], -v[32:33]
	s_waitcnt vmcnt(1)
	v_mul_f64 v[0:1], v[46:47], v[62:63]
	scratch_store_b128 off, v[60:63], off offset:1008 ; 16-byte Folded Spill
	s_waitcnt vmcnt(0)
	scratch_store_b128 off, v[48:51], off offset:976 ; 16-byte Folded Spill
	v_fma_f64 v[169:170], v[44:45], v[60:61], -v[0:1]
	v_mul_f64 v[0:1], v[44:45], v[62:63]
	s_delay_alu instid0(VALU_DEP_1) | instskip(SKIP_2) | instid1(VALU_DEP_1)
	v_fma_f64 v[171:172], v[46:47], v[60:61], v[0:1]
	s_waitcnt lgkmcnt(0)
	v_mul_f64 v[0:1], v[58:59], v[50:51]
	v_fma_f64 v[173:174], v[56:57], v[48:49], -v[0:1]
	v_mul_f64 v[0:1], v[56:57], v[50:51]
	s_delay_alu instid0(VALU_DEP_1) | instskip(SKIP_2) | instid1(VALU_DEP_2)
	v_fma_f64 v[175:176], v[58:59], v[48:49], v[0:1]
	v_add_f64 v[0:1], v[18:19], -v[24:25]
	v_add_f64 v[48:49], v[24:25], v[30:31]
	v_add_f64 v[56:57], v[0:1], v[2:3]
	v_add_f64 v[0:1], v[20:21], -v[26:27]
	v_add_f64 v[2:3], v[14:15], -v[32:33]
	s_delay_alu instid0(VALU_DEP_1)
	v_add_f64 v[58:59], v[0:1], v[2:3]
	ds_load_b128 v[0:3], v192 offset:1440
	ds_load_b128 v[44:47], v192
	s_waitcnt lgkmcnt(1)
	v_fma_f64 v[60:61], v[48:49], -0.5, v[0:1]
	v_add_f64 v[48:49], v[26:27], v[32:33]
	s_delay_alu instid0(VALU_DEP_1) | instskip(NEXT) | instid1(VALU_DEP_3)
	v_fma_f64 v[62:63], v[48:49], -0.5, v[2:3]
	v_fma_f64 v[48:49], v[68:69], s[14:15], v[60:61]
	v_fma_f64 v[60:61], v[68:69], s[16:17], v[60:61]
	s_delay_alu instid0(VALU_DEP_3) | instskip(SKIP_1) | instid1(VALU_DEP_4)
	v_fma_f64 v[50:51], v[72:73], s[16:17], v[62:63]
	v_fma_f64 v[62:63], v[72:73], s[14:15], v[62:63]
	;; [unrolled: 1-line block ×3, first 2 shown]
	s_delay_alu instid0(VALU_DEP_4) | instskip(NEXT) | instid1(VALU_DEP_4)
	v_fma_f64 v[60:61], v[70:71], s[12:13], v[60:61]
	v_fma_f64 v[50:51], v[74:75], s[12:13], v[50:51]
	s_delay_alu instid0(VALU_DEP_4) | instskip(NEXT) | instid1(VALU_DEP_4)
	v_fma_f64 v[62:63], v[74:75], s[10:11], v[62:63]
	v_fma_f64 v[48:49], v[56:57], s[18:19], v[48:49]
	s_delay_alu instid0(VALU_DEP_4) | instskip(SKIP_4) | instid1(VALU_DEP_4)
	v_fma_f64 v[56:57], v[56:57], s[18:19], v[60:61]
	v_add_f64 v[60:61], v[18:19], v[12:13]
	v_fma_f64 v[50:51], v[58:59], s[18:19], v[50:51]
	v_fma_f64 v[58:59], v[58:59], s[18:19], v[62:63]
	v_add_f64 v[62:63], v[20:21], v[14:15]
	v_fma_f64 v[60:61], v[60:61], -0.5, v[0:1]
	v_add_f64 v[0:1], v[0:1], v[18:19]
	v_add_f64 v[18:19], v[24:25], -v[18:19]
	s_delay_alu instid0(VALU_DEP_4) | instskip(SKIP_4) | instid1(VALU_DEP_4)
	v_fma_f64 v[62:63], v[62:63], -0.5, v[2:3]
	v_add_f64 v[2:3], v[2:3], v[20:21]
	v_add_f64 v[20:21], v[26:27], -v[20:21]
	v_add_f64 v[0:1], v[0:1], v[24:25]
	v_add_f64 v[24:25], v[30:31], -v[12:13]
	v_add_f64 v[2:3], v[2:3], v[26:27]
	v_fma_f64 v[26:27], v[70:71], s[14:15], v[60:61]
	s_delay_alu instid0(VALU_DEP_4) | instskip(SKIP_3) | instid1(VALU_DEP_4)
	v_add_f64 v[0:1], v[0:1], v[30:31]
	v_fma_f64 v[30:31], v[74:75], s[14:15], v[62:63]
	v_add_f64 v[18:19], v[18:19], v[24:25]
	v_add_f64 v[2:3], v[2:3], v[32:33]
	;; [unrolled: 1-line block ×3, first 2 shown]
	v_add_f64 v[12:13], v[32:33], -v[14:15]
	v_fma_f64 v[32:33], v[74:75], s[16:17], v[62:63]
	v_fma_f64 v[24:25], v[72:73], s[12:13], v[30:31]
	v_add_f64 v[2:3], v[2:3], v[14:15]
	v_fma_f64 v[14:15], v[70:71], s[16:17], v[60:61]
	v_add_f64 v[12:13], v[20:21], v[12:13]
	v_fma_f64 v[20:21], v[68:69], s[12:13], v[26:27]
	v_fma_f64 v[26:27], v[72:73], s[10:11], v[32:33]
	v_add_f64 v[32:33], v[16:17], -v[40:41]
	v_fma_f64 v[14:15], v[68:69], s[10:11], v[14:15]
	v_fma_f64 v[62:63], v[12:13], s[18:19], v[24:25]
	;; [unrolled: 1-line block ×4, first 2 shown]
	v_add_f64 v[12:13], v[16:17], -v[28:29]
	v_add_f64 v[20:21], v[34:35], v[38:39]
	v_add_f64 v[24:25], v[22:23], -v[42:43]
	v_add_f64 v[26:27], v[34:35], -v[38:39]
	v_fma_f64 v[60:61], v[18:19], s[18:19], v[14:15]
	v_add_f64 v[14:15], v[40:41], -v[36:37]
	v_add_f64 v[18:19], v[42:43], -v[38:39]
	s_waitcnt lgkmcnt(0)
	v_fma_f64 v[20:21], v[20:21], -0.5, v[46:47]
	s_delay_alu instid0(VALU_DEP_3) | instskip(SKIP_1) | instid1(VALU_DEP_3)
	v_add_f64 v[12:13], v[12:13], v[14:15]
	v_add_f64 v[14:15], v[22:23], -v[34:35]
	v_fma_f64 v[72:73], v[32:33], s[16:17], v[20:21]
	v_fma_f64 v[20:21], v[32:33], s[14:15], v[20:21]
	s_delay_alu instid0(VALU_DEP_3) | instskip(SKIP_1) | instid1(VALU_DEP_4)
	v_add_f64 v[14:15], v[14:15], v[18:19]
	v_add_f64 v[18:19], v[28:29], v[36:37]
	v_fma_f64 v[74:75], v[76:77], s[12:13], v[72:73]
	s_delay_alu instid0(VALU_DEP_4) | instskip(NEXT) | instid1(VALU_DEP_3)
	v_fma_f64 v[20:21], v[76:77], s[10:11], v[20:21]
	v_fma_f64 v[18:19], v[18:19], -0.5, v[44:45]
	s_delay_alu instid0(VALU_DEP_3) | instskip(NEXT) | instid1(VALU_DEP_3)
	v_fma_f64 v[74:75], v[14:15], s[18:19], v[74:75]
	v_fma_f64 v[82:83], v[14:15], s[18:19], v[20:21]
	v_add_f64 v[20:21], v[46:47], v[22:23]
	v_add_f64 v[14:15], v[22:23], v[42:43]
	v_add_f64 v[22:23], v[34:35], -v[22:23]
	v_fma_f64 v[30:31], v[24:25], s[14:15], v[18:19]
	v_fma_f64 v[18:19], v[24:25], s[16:17], v[18:19]
	v_add_f64 v[20:21], v[20:21], v[34:35]
	v_fma_f64 v[14:15], v[14:15], -0.5, v[46:47]
	s_delay_alu instid0(VALU_DEP_4) | instskip(NEXT) | instid1(VALU_DEP_4)
	v_fma_f64 v[30:31], v[26:27], s[10:11], v[30:31]
	v_fma_f64 v[18:19], v[26:27], s[12:13], v[18:19]
	s_delay_alu instid0(VALU_DEP_4) | instskip(NEXT) | instid1(VALU_DEP_3)
	v_add_f64 v[20:21], v[20:21], v[38:39]
	v_fma_f64 v[72:73], v[12:13], s[18:19], v[30:31]
	s_delay_alu instid0(VALU_DEP_3) | instskip(SKIP_4) | instid1(VALU_DEP_4)
	v_fma_f64 v[80:81], v[12:13], s[18:19], v[18:19]
	v_add_f64 v[18:19], v[44:45], v[16:17]
	v_add_f64 v[12:13], v[16:17], v[40:41]
	v_add_f64 v[16:17], v[28:29], -v[16:17]
	v_add_f64 v[46:47], v[20:21], v[42:43]
	v_add_f64 v[18:19], v[18:19], v[28:29]
	s_delay_alu instid0(VALU_DEP_4) | instskip(SKIP_1) | instid1(VALU_DEP_3)
	v_fma_f64 v[12:13], v[12:13], -0.5, v[44:45]
	v_add_f64 v[28:29], v[36:37], -v[40:41]
	v_add_f64 v[18:19], v[18:19], v[36:37]
	s_delay_alu instid0(VALU_DEP_3)
	v_fma_f64 v[20:21], v[26:27], s[16:17], v[12:13]
	v_fma_f64 v[12:13], v[26:27], s[14:15], v[12:13]
	;; [unrolled: 1-line block ×4, first 2 shown]
	v_add_f64 v[16:17], v[16:17], v[28:29]
	ds_load_b128 v[76:79], v192 offset:2880
	ds_load_b128 v[96:99], v192 offset:4320
	v_add_f64 v[28:29], v[126:127], -v[130:131]
	s_waitcnt lgkmcnt(0)
	s_waitcnt_vscnt null, 0x0
	s_barrier
	buffer_gl0_inv
	v_add_f64 v[44:45], v[18:19], v[40:41]
	v_add_f64 v[18:19], v[38:39], -v[42:43]
	v_fma_f64 v[12:13], v[24:25], s[12:13], v[12:13]
	v_fma_f64 v[20:21], v[24:25], s[10:11], v[20:21]
	;; [unrolled: 1-line block ×3, first 2 shown]
	s_delay_alu instid0(VALU_DEP_4) | instskip(NEXT) | instid1(VALU_DEP_4)
	v_add_f64 v[18:19], v[22:23], v[18:19]
	v_fma_f64 v[92:93], v[16:17], s[18:19], v[12:13]
	v_add_f64 v[12:13], v[120:121], -v[126:127]
	v_fma_f64 v[22:23], v[32:33], s[12:13], v[26:27]
	v_fma_f64 v[88:89], v[16:17], s[18:19], v[20:21]
	v_add_f64 v[16:17], v[136:137], -v[132:133]
	v_add_f64 v[20:21], v[124:125], -v[136:137]
	;; [unrolled: 1-line block ×4, first 2 shown]
	v_fma_f64 v[94:95], v[18:19], s[18:19], v[14:15]
	v_add_f64 v[14:15], v[134:135], -v[130:131]
	v_fma_f64 v[90:91], v[18:19], s[18:19], v[22:23]
	v_add_f64 v[18:19], v[128:129], v[132:133]
	v_add_f64 v[22:23], v[128:129], -v[132:133]
	ds_store_b128 v6, v[44:47]
	ds_store_b128 v6, v[72:75] offset:480
	ds_store_b128 v6, v[88:91] offset:960
	ds_store_b128 v6, v[92:95] offset:1440
	v_add_f64 v[12:13], v[12:13], v[14:15]
	v_add_f64 v[14:15], v[124:125], -v[128:129]
	v_fma_f64 v[18:19], v[18:19], -0.5, v[78:79]
	scratch_store_b32 off, v6, off offset:876 ; 4-byte Folded Spill
	ds_store_b128 v6, v[80:83] offset:1920
	ds_store_b128 v4, v[0:3]
	ds_store_b128 v4, v[48:51] offset:480
	ds_store_b128 v4, v[60:63] offset:960
	;; [unrolled: 1-line block ×3, first 2 shown]
	v_mad_u16 v0, 0x96, v8, v9
	scratch_store_b32 off, v4, off offset:872 ; 4-byte Folded Spill
	ds_store_b128 v4, v[56:59] offset:1920
	v_and_b32_e32 v0, 0xffff, v0
	s_delay_alu instid0(VALU_DEP_1) | instskip(SKIP_4) | instid1(VALU_DEP_3)
	v_lshlrev_b32_e32 v0, 4, v0
	v_add_f64 v[14:15], v[14:15], v[16:17]
	v_add_f64 v[16:17], v[126:127], v[130:131]
	v_fma_f64 v[30:31], v[26:27], s[16:17], v[18:19]
	v_fma_f64 v[18:19], v[26:27], s[14:15], v[18:19]
	v_fma_f64 v[16:17], v[16:17], -0.5, v[76:77]
	s_delay_alu instid0(VALU_DEP_3) | instskip(NEXT) | instid1(VALU_DEP_3)
	v_fma_f64 v[30:31], v[28:29], s[12:13], v[30:31]
	v_fma_f64 v[18:19], v[28:29], s[10:11], v[18:19]
	s_delay_alu instid0(VALU_DEP_3) | instskip(SKIP_1) | instid1(VALU_DEP_3)
	v_fma_f64 v[24:25], v[20:21], s[14:15], v[16:17]
	v_fma_f64 v[16:17], v[20:21], s[16:17], v[16:17]
	;; [unrolled: 1-line block ×3, first 2 shown]
	v_add_f64 v[18:19], v[78:79], v[124:125]
	v_fma_f64 v[102:103], v[14:15], s[18:19], v[30:31]
	v_add_f64 v[14:15], v[124:125], v[136:137]
	v_add_f64 v[30:31], v[128:129], -v[124:125]
	v_fma_f64 v[24:25], v[22:23], s[10:11], v[24:25]
	v_fma_f64 v[16:17], v[22:23], s[12:13], v[16:17]
	v_add_f64 v[18:19], v[18:19], v[128:129]
	v_fma_f64 v[14:15], v[14:15], -0.5, v[78:79]
	s_delay_alu instid0(VALU_DEP_4) | instskip(NEXT) | instid1(VALU_DEP_4)
	v_fma_f64 v[100:101], v[12:13], s[18:19], v[24:25]
	v_fma_f64 v[116:117], v[12:13], s[18:19], v[16:17]
	v_add_f64 v[16:17], v[76:77], v[120:121]
	v_add_f64 v[12:13], v[120:121], v[134:135]
	;; [unrolled: 1-line block ×3, first 2 shown]
	v_add_f64 v[24:25], v[126:127], -v[120:121]
	s_delay_alu instid0(VALU_DEP_4) | instskip(NEXT) | instid1(VALU_DEP_4)
	v_add_f64 v[16:17], v[16:17], v[126:127]
	v_fma_f64 v[12:13], v[12:13], -0.5, v[76:77]
	s_delay_alu instid0(VALU_DEP_4) | instskip(NEXT) | instid1(VALU_DEP_4)
	v_add_f64 v[122:123], v[18:19], v[136:137]
	v_add_f64 v[24:25], v[24:25], v[32:33]
	v_add_f64 v[32:33], v[148:149], -v[152:153]
	v_add_f64 v[16:17], v[16:17], v[130:131]
	v_fma_f64 v[18:19], v[22:23], s[16:17], v[12:13]
	v_fma_f64 v[12:13], v[22:23], s[14:15], v[12:13]
	;; [unrolled: 1-line block ×4, first 2 shown]
	v_add_f64 v[28:29], v[144:145], -v[148:149]
	v_add_f64 v[120:121], v[16:17], v[134:135]
	v_add_f64 v[16:17], v[132:133], -v[136:137]
	v_fma_f64 v[12:13], v[20:21], s[12:13], v[12:13]
	v_fma_f64 v[18:19], v[20:21], s[10:11], v[18:19]
	;; [unrolled: 1-line block ×4, first 2 shown]
	v_add_f64 v[26:27], v[140:141], -v[152:153]
	v_add_f64 v[22:23], v[146:147], -v[150:151]
	v_add_f64 v[16:17], v[30:31], v[16:17]
	v_fma_f64 v[128:129], v[24:25], s[18:19], v[12:13]
	v_add_f64 v[12:13], v[140:141], -v[144:145]
	v_fma_f64 v[124:125], v[24:25], s[18:19], v[18:19]
	v_add_f64 v[18:19], v[146:147], v[150:151]
	v_fma_f64 v[130:131], v[16:17], s[18:19], v[14:15]
	v_add_f64 v[14:15], v[152:153], -v[148:149]
	v_fma_f64 v[126:127], v[16:17], s[18:19], v[20:21]
	v_add_f64 v[16:17], v[154:155], -v[150:151]
	v_fma_f64 v[18:19], v[18:19], -0.5, v[98:99]
	v_add_f64 v[20:21], v[142:143], -v[154:155]
	ds_store_b128 v0, v[120:123]
	ds_store_b128 v0, v[100:103] offset:480
	ds_store_b128 v0, v[124:127] offset:960
	;; [unrolled: 1-line block ×3, first 2 shown]
	v_add_f64 v[12:13], v[12:13], v[14:15]
	v_add_f64 v[14:15], v[142:143], -v[146:147]
	scratch_store_b32 off, v0, off offset:868 ; 4-byte Folded Spill
	v_fma_f64 v[30:31], v[26:27], s[16:17], v[18:19]
	v_fma_f64 v[18:19], v[26:27], s[14:15], v[18:19]
	ds_store_b128 v0, v[116:119] offset:1920
	v_mad_u16 v0, 0x96, v177, v178
	s_delay_alu instid0(VALU_DEP_1) | instskip(NEXT) | instid1(VALU_DEP_1)
	v_and_b32_e32 v0, 0xffff, v0
	v_lshlrev_b32_e32 v0, 4, v0
	v_add_f64 v[14:15], v[14:15], v[16:17]
	v_add_f64 v[16:17], v[144:145], v[148:149]
	v_fma_f64 v[30:31], v[28:29], s[12:13], v[30:31]
	v_fma_f64 v[18:19], v[28:29], s[10:11], v[18:19]
	s_delay_alu instid0(VALU_DEP_3) | instskip(NEXT) | instid1(VALU_DEP_3)
	v_fma_f64 v[16:17], v[16:17], -0.5, v[96:97]
	v_fma_f64 v[134:135], v[14:15], s[18:19], v[30:31]
	s_delay_alu instid0(VALU_DEP_3)
	v_fma_f64 v[138:139], v[14:15], s[18:19], v[18:19]
	v_add_f64 v[18:19], v[98:99], v[142:143]
	v_add_f64 v[14:15], v[142:143], v[154:155]
	v_add_f64 v[30:31], v[146:147], -v[142:143]
	v_fma_f64 v[24:25], v[20:21], s[14:15], v[16:17]
	v_fma_f64 v[16:17], v[20:21], s[16:17], v[16:17]
	v_add_f64 v[18:19], v[18:19], v[146:147]
	v_fma_f64 v[14:15], v[14:15], -0.5, v[98:99]
	s_delay_alu instid0(VALU_DEP_4) | instskip(NEXT) | instid1(VALU_DEP_4)
	v_fma_f64 v[24:25], v[22:23], s[10:11], v[24:25]
	v_fma_f64 v[16:17], v[22:23], s[12:13], v[16:17]
	s_delay_alu instid0(VALU_DEP_4) | instskip(NEXT) | instid1(VALU_DEP_3)
	v_add_f64 v[18:19], v[18:19], v[150:151]
	v_fma_f64 v[132:133], v[12:13], s[18:19], v[24:25]
	s_delay_alu instid0(VALU_DEP_3) | instskip(SKIP_4) | instid1(VALU_DEP_4)
	v_fma_f64 v[136:137], v[12:13], s[18:19], v[16:17]
	v_add_f64 v[16:17], v[96:97], v[140:141]
	v_add_f64 v[12:13], v[140:141], v[152:153]
	v_add_f64 v[24:25], v[144:145], -v[140:141]
	v_add_f64 v[98:99], v[18:19], v[154:155]
	v_add_f64 v[16:17], v[16:17], v[144:145]
	s_delay_alu instid0(VALU_DEP_4) | instskip(NEXT) | instid1(VALU_DEP_4)
	v_fma_f64 v[12:13], v[12:13], -0.5, v[96:97]
	v_add_f64 v[24:25], v[24:25], v[32:33]
	v_add_f64 v[32:33], v[173:174], -v[169:170]
	s_delay_alu instid0(VALU_DEP_4) | instskip(NEXT) | instid1(VALU_DEP_4)
	v_add_f64 v[16:17], v[16:17], v[148:149]
	v_fma_f64 v[18:19], v[22:23], s[16:17], v[12:13]
	v_fma_f64 v[12:13], v[22:23], s[14:15], v[12:13]
	;; [unrolled: 1-line block ×4, first 2 shown]
	v_add_f64 v[28:29], v[156:157], -v[173:174]
	v_add_f64 v[96:97], v[16:17], v[152:153]
	v_add_f64 v[16:17], v[150:151], -v[154:155]
	v_fma_f64 v[12:13], v[20:21], s[12:13], v[12:13]
	v_fma_f64 v[18:19], v[20:21], s[10:11], v[18:19]
	;; [unrolled: 1-line block ×4, first 2 shown]
	v_add_f64 v[26:27], v[165:166], -v[169:170]
	v_add_f64 v[22:23], v[158:159], -v[175:176]
	v_add_f64 v[16:17], v[30:31], v[16:17]
	v_fma_f64 v[144:145], v[24:25], s[18:19], v[12:13]
	v_add_f64 v[12:13], v[165:166], -v[156:157]
	v_fma_f64 v[140:141], v[24:25], s[18:19], v[18:19]
	v_add_f64 v[18:19], v[158:159], v[175:176]
	v_fma_f64 v[146:147], v[16:17], s[18:19], v[14:15]
	v_add_f64 v[14:15], v[169:170], -v[173:174]
	v_fma_f64 v[142:143], v[16:17], s[18:19], v[20:21]
	v_add_f64 v[16:17], v[171:172], -v[175:176]
	v_fma_f64 v[18:19], v[18:19], -0.5, v[114:115]
	v_add_f64 v[20:21], v[167:168], -v[171:172]
	ds_store_b128 v0, v[96:99]
	ds_store_b128 v0, v[132:135] offset:480
	ds_store_b128 v0, v[140:143] offset:960
	;; [unrolled: 1-line block ×3, first 2 shown]
	v_add_f64 v[12:13], v[12:13], v[14:15]
	v_add_f64 v[14:15], v[167:168], -v[158:159]
	scratch_store_b32 off, v0, off offset:864 ; 4-byte Folded Spill
	v_fma_f64 v[30:31], v[26:27], s[14:15], v[18:19]
	v_fma_f64 v[18:19], v[26:27], s[16:17], v[18:19]
	ds_store_b128 v0, v[136:139] offset:1920
	v_mad_u16 v0, 0x96, v179, v180
	s_delay_alu instid0(VALU_DEP_1) | instskip(NEXT) | instid1(VALU_DEP_1)
	v_and_b32_e32 v0, 0xffff, v0
	v_lshlrev_b32_e32 v0, 4, v0
	v_add_f64 v[14:15], v[14:15], v[16:17]
	v_add_f64 v[16:17], v[156:157], v[173:174]
	v_fma_f64 v[30:31], v[28:29], s[12:13], v[30:31]
	v_fma_f64 v[18:19], v[28:29], s[10:11], v[18:19]
	s_delay_alu instid0(VALU_DEP_3) | instskip(NEXT) | instid1(VALU_DEP_3)
	v_fma_f64 v[16:17], v[16:17], -0.5, v[112:113]
	v_fma_f64 v[150:151], v[14:15], s[18:19], v[30:31]
	s_delay_alu instid0(VALU_DEP_3)
	v_fma_f64 v[154:155], v[14:15], s[18:19], v[18:19]
	v_add_f64 v[18:19], v[114:115], v[158:159]
	v_add_f64 v[14:15], v[167:168], v[171:172]
	v_add_f64 v[30:31], v[158:159], -v[167:168]
	v_fma_f64 v[24:25], v[20:21], s[16:17], v[16:17]
	v_fma_f64 v[16:17], v[20:21], s[14:15], v[16:17]
	v_add_f64 v[18:19], v[18:19], v[167:168]
	v_fma_f64 v[14:15], v[14:15], -0.5, v[114:115]
	s_delay_alu instid0(VALU_DEP_4) | instskip(NEXT) | instid1(VALU_DEP_4)
	v_fma_f64 v[24:25], v[22:23], s[10:11], v[24:25]
	v_fma_f64 v[16:17], v[22:23], s[12:13], v[16:17]
	s_delay_alu instid0(VALU_DEP_4) | instskip(NEXT) | instid1(VALU_DEP_3)
	v_add_f64 v[18:19], v[18:19], v[171:172]
	v_fma_f64 v[148:149], v[12:13], s[18:19], v[24:25]
	s_delay_alu instid0(VALU_DEP_3) | instskip(SKIP_4) | instid1(VALU_DEP_4)
	v_fma_f64 v[152:153], v[12:13], s[18:19], v[16:17]
	v_add_f64 v[16:17], v[112:113], v[156:157]
	v_add_f64 v[12:13], v[165:166], v[169:170]
	v_add_f64 v[24:25], v[156:157], -v[165:166]
	v_add_f64 v[114:115], v[18:19], v[175:176]
	v_add_f64 v[16:17], v[16:17], v[165:166]
	s_delay_alu instid0(VALU_DEP_4) | instskip(NEXT) | instid1(VALU_DEP_4)
	v_fma_f64 v[12:13], v[12:13], -0.5, v[112:113]
	v_add_f64 v[24:25], v[24:25], v[32:33]
	s_delay_alu instid0(VALU_DEP_3) | instskip(NEXT) | instid1(VALU_DEP_3)
	v_add_f64 v[16:17], v[16:17], v[169:170]
	v_fma_f64 v[18:19], v[22:23], s[14:15], v[12:13]
	v_fma_f64 v[12:13], v[22:23], s[16:17], v[12:13]
	;; [unrolled: 1-line block ×4, first 2 shown]
	v_add_f64 v[112:113], v[16:17], v[173:174]
	v_add_f64 v[16:17], v[175:176], -v[171:172]
	v_fma_f64 v[12:13], v[20:21], s[12:13], v[12:13]
	v_fma_f64 v[18:19], v[20:21], s[10:11], v[18:19]
	;; [unrolled: 1-line block ×4, first 2 shown]
	v_add_f64 v[16:17], v[30:31], v[16:17]
	v_fma_f64 v[76:77], v[24:25], s[18:19], v[12:13]
	v_fma_f64 v[156:157], v[24:25], s[18:19], v[18:19]
	s_delay_alu instid0(VALU_DEP_3)
	v_fma_f64 v[78:79], v[16:17], s[18:19], v[14:15]
	v_fma_f64 v[158:159], v[16:17], s[18:19], v[20:21]
	ds_store_b128 v0, v[112:115]
	ds_store_b128 v0, v[156:159] offset:480
	ds_store_b128 v0, v[148:151] offset:960
	;; [unrolled: 1-line block ×3, first 2 shown]
	scratch_store_b32 off, v0, off offset:860 ; 4-byte Folded Spill
	ds_store_b128 v0, v[76:79] offset:1920
	s_waitcnt lgkmcnt(0)
	s_waitcnt_vscnt null, 0x0
	s_barrier
	buffer_gl0_inv
	ds_load_b128 v[120:123], v192 offset:1440
	ds_load_b128 v[124:127], v192 offset:2880
	;; [unrolled: 1-line block ×22, first 2 shown]
	ds_load_b128 v[128:131], v192
	ds_load_b128 v[0:3], v192 offset:34080
	s_and_saveexec_b32 s1, s0
	s_cbranch_execz .LBB0_13
; %bb.12:
	ds_load_b128 v[52:55], v192 offset:23520
	ds_load_b128 v[76:79], v192 offset:11520
	;; [unrolled: 1-line block ×3, first 2 shown]
.LBB0_13:
	s_or_b32 exec_lo, exec_lo, s1
	v_dual_mov_b32 v21, v199 :: v_dual_lshlrev_b32 v6, 5, v199
	s_mov_b32 s10, 0xe8584caa
	s_mov_b32 s11, 0x3febb67a
	;; [unrolled: 1-line block ×3, first 2 shown]
	s_clause 0x1
	global_load_b128 v[12:15], v6, s[2:3] offset:2240
	global_load_b128 v[16:19], v6, s[2:3] offset:2256
	s_mov_b32 s12, s10
	s_waitcnt vmcnt(1) lgkmcnt(5)
	v_mul_f64 v[4:5], v[158:159], v[14:15]
	scratch_store_b128 off, v[12:15], off offset:688 ; 16-byte Folded Spill
	s_waitcnt vmcnt(0)
	scratch_store_b128 off, v[16:19], off offset:704 ; 16-byte Folded Spill
	v_fma_f64 v[170:171], v[156:157], v[12:13], -v[4:5]
	v_mul_f64 v[4:5], v[156:157], v[14:15]
	s_delay_alu instid0(VALU_DEP_1)
	v_fma_f64 v[178:179], v[158:159], v[12:13], v[4:5]
	s_clause 0x1
	global_load_b128 v[12:15], v6, s[2:3] offset:3200
	global_load_b128 v[6:9], v6, s[2:3] offset:3216
	s_waitcnt lgkmcnt(3)
	v_mul_f64 v[4:5], v[154:155], v[18:19]
	s_delay_alu instid0(VALU_DEP_1) | instskip(SKIP_1) | instid1(VALU_DEP_1)
	v_fma_f64 v[176:177], v[152:153], v[16:17], -v[4:5]
	v_mul_f64 v[4:5], v[152:153], v[18:19]
	v_fma_f64 v[180:181], v[154:155], v[16:17], v[4:5]
	s_waitcnt vmcnt(1)
	v_mul_f64 v[4:5], v[150:151], v[14:15]
	scratch_store_b128 off, v[12:15], off offset:728 ; 16-byte Folded Spill
	s_waitcnt vmcnt(0)
	scratch_store_b128 off, v[6:9], off offset:744 ; 16-byte Folded Spill
	v_fma_f64 v[166:167], v[148:149], v[12:13], -v[4:5]
	v_mul_f64 v[4:5], v[148:149], v[14:15]
	s_delay_alu instid0(VALU_DEP_1) | instskip(SKIP_1) | instid1(VALU_DEP_1)
	v_fma_f64 v[172:173], v[150:151], v[12:13], v[4:5]
	v_mul_f64 v[4:5], v[146:147], v[8:9]
	v_fma_f64 v[168:169], v[144:145], v[6:7], -v[4:5]
	v_mul_f64 v[4:5], v[144:145], v[8:9]
	s_delay_alu instid0(VALU_DEP_1) | instskip(SKIP_1) | instid1(VALU_DEP_1)
	v_fma_f64 v[174:175], v[146:147], v[6:7], v[4:5]
	v_add_co_u32 v4, s1, 0xffffffc4, v199
	v_add_co_ci_u32_e64 v5, null, 0, -1, s1
	v_cmp_gt_u16_e64 s1, 60, v199
	s_delay_alu instid0(VALU_DEP_1) | instskip(NEXT) | instid1(VALU_DEP_4)
	v_cndmask_b32_e64 v153, v5, v164, s1
	v_cndmask_b32_e64 v152, v4, v195, s1
	s_delay_alu instid0(VALU_DEP_1) | instskip(NEXT) | instid1(VALU_DEP_1)
	v_lshlrev_b64 v[4:5], 5, v[152:153]
	v_add_co_u32 v4, s1, s2, v4
	s_delay_alu instid0(VALU_DEP_1)
	v_add_co_ci_u32_e64 v5, s1, s3, v5, s1
	s_clause 0x1
	global_load_b128 v[6:9], v[4:5], off offset:2240
	global_load_b128 v[12:15], v[4:5], off offset:2256
	s_waitcnt vmcnt(1)
	v_mul_f64 v[4:5], v[142:143], v[8:9]
	scratch_store_b128 off, v[6:9], off offset:812 ; 16-byte Folded Spill
	s_waitcnt vmcnt(0)
	scratch_store_b128 off, v[12:15], off offset:828 ; 16-byte Folded Spill
	v_fma_f64 v[144:145], v[140:141], v[6:7], -v[4:5]
	v_mul_f64 v[4:5], v[140:141], v[8:9]
	s_delay_alu instid0(VALU_DEP_1) | instskip(SKIP_1) | instid1(VALU_DEP_1)
	v_fma_f64 v[142:143], v[142:143], v[6:7], v[4:5]
	v_mul_f64 v[4:5], v[138:139], v[14:15]
	v_fma_f64 v[140:141], v[136:137], v[12:13], -v[4:5]
	v_mul_f64 v[4:5], v[136:137], v[14:15]
	s_delay_alu instid0(VALU_DEP_1) | instskip(SKIP_1) | instid1(VALU_DEP_1)
	v_fma_f64 v[136:137], v[138:139], v[12:13], v[4:5]
	v_lshrrev_b16 v4, 1, v160
	v_and_b32_e32 v4, 0xffff, v4
	s_delay_alu instid0(VALU_DEP_1) | instskip(NEXT) | instid1(VALU_DEP_1)
	v_mul_u32_u24_e32 v4, 0xda75, v4
	v_lshrrev_b32_e32 v4, 22, v4
	s_delay_alu instid0(VALU_DEP_1) | instskip(NEXT) | instid1(VALU_DEP_1)
	v_mul_lo_u16 v5, 0x96, v4
	v_sub_nc_u16 v5, v160, v5
	s_delay_alu instid0(VALU_DEP_1) | instskip(SKIP_1) | instid1(VALU_DEP_2)
	v_lshlrev_b16 v6, 5, v5
	v_mad_u16 v4, 0x1c2, v4, v5
	v_and_b32_e32 v6, 0xffff, v6
	s_delay_alu instid0(VALU_DEP_2) | instskip(NEXT) | instid1(VALU_DEP_2)
	v_and_b32_e32 v4, 0xffff, v4
	v_add_co_u32 v6, s1, s2, v6
	s_delay_alu instid0(VALU_DEP_1)
	v_add_co_ci_u32_e64 v7, null, s3, 0, s1
	s_clause 0x1
	global_load_b128 v[12:15], v[6:7], off offset:2240
	global_load_b128 v[16:19], v[6:7], off offset:2256
	v_lshlrev_b32_e32 v4, 4, v4
	s_waitcnt vmcnt(1)
	v_mul_f64 v[6:7], v[50:51], v[14:15]
	scratch_store_b128 off, v[12:15], off offset:1056 ; 16-byte Folded Spill
	s_waitcnt vmcnt(0)
	scratch_store_b128 off, v[16:19], off offset:1072 ; 16-byte Folded Spill
	v_fma_f64 v[138:139], v[48:49], v[12:13], -v[6:7]
	v_mul_f64 v[6:7], v[48:49], v[14:15]
	s_delay_alu instid0(VALU_DEP_1) | instskip(SKIP_1) | instid1(VALU_DEP_1)
	v_fma_f64 v[148:149], v[50:51], v[12:13], v[6:7]
	v_mul_f64 v[6:7], v[46:47], v[18:19]
	v_fma_f64 v[146:147], v[44:45], v[16:17], -v[6:7]
	v_mul_f64 v[6:7], v[44:45], v[18:19]
	s_delay_alu instid0(VALU_DEP_1) | instskip(SKIP_1) | instid1(VALU_DEP_1)
	v_fma_f64 v[150:151], v[46:47], v[16:17], v[6:7]
	v_lshrrev_b16 v6, 1, v162
	v_and_b32_e32 v6, 0xffff, v6
	s_delay_alu instid0(VALU_DEP_1) | instskip(NEXT) | instid1(VALU_DEP_1)
	v_mul_u32_u24_e32 v6, 0xda75, v6
	v_lshrrev_b32_e32 v6, 22, v6
	s_delay_alu instid0(VALU_DEP_1) | instskip(NEXT) | instid1(VALU_DEP_1)
	v_mul_lo_u16 v6, 0x96, v6
	v_sub_nc_u16 v7, v162, v6
	s_delay_alu instid0(VALU_DEP_1) | instskip(NEXT) | instid1(VALU_DEP_1)
	v_lshlrev_b16 v6, 5, v7
	v_and_b32_e32 v6, 0xffff, v6
	s_delay_alu instid0(VALU_DEP_1) | instskip(NEXT) | instid1(VALU_DEP_1)
	v_add_co_u32 v8, s1, s2, v6
	v_add_co_ci_u32_e64 v9, null, s3, 0, s1
	s_clause 0x1
	global_load_b128 v[12:15], v[8:9], off offset:2240
	global_load_b128 v[16:19], v[8:9], off offset:2256
	v_lshrrev_b16 v6, 1, v182
	s_delay_alu instid0(VALU_DEP_1) | instskip(NEXT) | instid1(VALU_DEP_1)
	v_and_b32_e32 v6, 0xffff, v6
	v_mul_u32_u24_e32 v6, 0xda75, v6
	s_delay_alu instid0(VALU_DEP_1) | instskip(NEXT) | instid1(VALU_DEP_1)
	v_lshrrev_b32_e32 v6, 22, v6
	v_mul_lo_u16 v6, 0x96, v6
	s_delay_alu instid0(VALU_DEP_1) | instskip(NEXT) | instid1(VALU_DEP_1)
	v_sub_nc_u16 v159, v182, v6
	v_lshlrev_b16 v6, 5, v159
	s_delay_alu instid0(VALU_DEP_1)
	v_and_b32_e32 v6, 0xffff, v6
	s_waitcnt vmcnt(1)
	v_mul_f64 v[8:9], v[62:63], v[14:15]
	scratch_store_b128 off, v[12:15], off offset:1264 ; 16-byte Folded Spill
	s_waitcnt vmcnt(0)
	scratch_store_b128 off, v[16:19], off offset:1280 ; 16-byte Folded Spill
	v_fma_f64 v[153:154], v[60:61], v[12:13], -v[8:9]
	v_mul_f64 v[8:9], v[60:61], v[14:15]
	s_delay_alu instid0(VALU_DEP_1) | instskip(SKIP_1) | instid1(VALU_DEP_1)
	v_fma_f64 v[157:158], v[62:63], v[12:13], v[8:9]
	v_mul_f64 v[8:9], v[58:59], v[18:19]
	v_fma_f64 v[155:156], v[56:57], v[16:17], -v[8:9]
	v_mul_f64 v[8:9], v[56:57], v[18:19]
	s_delay_alu instid0(VALU_DEP_1) | instskip(SKIP_1) | instid1(VALU_DEP_1)
	v_fma_f64 v[164:165], v[58:59], v[16:17], v[8:9]
	v_add_co_u32 v8, s1, s2, v6
	v_add_co_ci_u32_e64 v9, null, s3, 0, s1
	s_clause 0x1
	global_load_b128 v[12:15], v[8:9], off offset:2240
	global_load_b128 v[16:19], v[8:9], off offset:2256
	v_lshrrev_b16 v6, 1, v190
	s_delay_alu instid0(VALU_DEP_1) | instskip(NEXT) | instid1(VALU_DEP_1)
	v_and_b32_e32 v6, 0xffff, v6
	v_mul_u32_u24_e32 v6, 0xda75, v6
	s_waitcnt vmcnt(1)
	v_mul_f64 v[8:9], v[74:75], v[14:15]
	scratch_store_b128 off, v[12:15], off offset:1312 ; 16-byte Folded Spill
	s_waitcnt vmcnt(0)
	scratch_store_b128 off, v[16:19], off offset:1328 ; 16-byte Folded Spill
	v_fma_f64 v[182:183], v[72:73], v[12:13], -v[8:9]
	v_mul_f64 v[8:9], v[72:73], v[14:15]
	s_delay_alu instid0(VALU_DEP_1) | instskip(SKIP_1) | instid1(VALU_DEP_1)
	v_fma_f64 v[186:187], v[74:75], v[12:13], v[8:9]
	v_mul_f64 v[8:9], v[70:71], v[18:19]
	v_fma_f64 v[184:185], v[68:69], v[16:17], -v[8:9]
	v_mul_f64 v[8:9], v[68:69], v[18:19]
	v_add_f64 v[19:20], v[178:179], -v[180:181]
	s_delay_alu instid0(VALU_DEP_2) | instskip(SKIP_1) | instid1(VALU_DEP_1)
	v_fma_f64 v[188:189], v[70:71], v[16:17], v[8:9]
	v_lshrrev_b32_e32 v8, 22, v6
	v_mul_lo_u16 v6, 0x96, v8
	s_delay_alu instid0(VALU_DEP_1) | instskip(NEXT) | instid1(VALU_DEP_1)
	v_sub_nc_u16 v9, v190, v6
	v_lshlrev_b16 v6, 5, v9
	s_delay_alu instid0(VALU_DEP_1) | instskip(NEXT) | instid1(VALU_DEP_1)
	v_and_b32_e32 v6, 0xffff, v6
	v_add_co_u32 v12, s1, s2, v6
	s_delay_alu instid0(VALU_DEP_1) | instskip(SKIP_4) | instid1(VALU_DEP_1)
	v_add_co_ci_u32_e64 v13, null, s3, 0, s1
	s_clause 0x1
	global_load_b128 v[14:17], v[12:13], off offset:2240
	global_load_b128 v[22:25], v[12:13], off offset:2256
	v_lshrrev_b16 v6, 1, v11
	v_and_b32_e32 v6, 0xffff, v6
	s_delay_alu instid0(VALU_DEP_1) | instskip(NEXT) | instid1(VALU_DEP_1)
	v_mul_u32_u24_e32 v6, 0xda75, v6
	v_lshrrev_b32_e32 v6, 22, v6
	s_delay_alu instid0(VALU_DEP_1) | instskip(NEXT) | instid1(VALU_DEP_1)
	v_mul_lo_u16 v6, 0x96, v6
	v_sub_nc_u16 v6, v11, v6
	s_delay_alu instid0(VALU_DEP_1) | instskip(NEXT) | instid1(VALU_DEP_1)
	v_lshlrev_b16 v11, 5, v6
	v_and_b32_e32 v11, 0xffff, v11
	s_delay_alu instid0(VALU_DEP_1)
	v_add_co_u32 v11, s1, s2, v11
	s_waitcnt vmcnt(1)
	v_mul_f64 v[12:13], v[90:91], v[16:17]
	scratch_store_b128 off, v[14:17], off offset:1360 ; 16-byte Folded Spill
	s_waitcnt vmcnt(0)
	scratch_store_b128 off, v[22:25], off offset:1376 ; 16-byte Folded Spill
	v_fma_f64 v[190:191], v[88:89], v[14:15], -v[12:13]
	v_mul_f64 v[12:13], v[88:89], v[16:17]
	s_delay_alu instid0(VALU_DEP_1) | instskip(SKIP_1) | instid1(VALU_DEP_1)
	v_fma_f64 v[198:199], v[90:91], v[14:15], v[12:13]
	v_mul_f64 v[12:13], v[82:83], v[24:25]
	v_fma_f64 v[196:197], v[80:81], v[22:23], -v[12:13]
	v_mul_f64 v[12:13], v[80:81], v[24:25]
	s_delay_alu instid0(VALU_DEP_1)
	v_fma_f64 v[200:201], v[82:83], v[22:23], v[12:13]
	v_add_co_ci_u32_e64 v12, null, s3, 0, s1
	s_clause 0x1
	global_load_b128 v[88:91], v[11:12], off offset:2240
	global_load_b128 v[80:83], v[11:12], off offset:2256
	s_waitcnt vmcnt(1) lgkmcnt(2)
	v_mul_f64 v[11:12], v[134:135], v[90:91]
	s_delay_alu instid0(VALU_DEP_1) | instskip(SKIP_1) | instid1(VALU_DEP_1)
	v_fma_f64 v[202:203], v[132:133], v[88:89], -v[11:12]
	v_mul_f64 v[11:12], v[132:133], v[90:91]
	v_fma_f64 v[134:135], v[134:135], v[88:89], v[11:12]
	s_waitcnt vmcnt(0) lgkmcnt(0)
	v_mul_f64 v[11:12], v[2:3], v[82:83]
	s_delay_alu instid0(VALU_DEP_1) | instskip(SKIP_1) | instid1(VALU_DEP_1)
	v_fma_f64 v[132:133], v[0:1], v[80:81], -v[11:12]
	v_mul_f64 v[0:1], v[0:1], v[82:83]
	v_fma_f64 v[204:205], v[2:3], v[80:81], v[0:1]
	v_lshrrev_b16 v0, 1, v10
	s_delay_alu instid0(VALU_DEP_1) | instskip(NEXT) | instid1(VALU_DEP_1)
	v_and_b32_e32 v0, 0xffff, v0
	v_mul_u32_u24_e32 v0, 0xda75, v0
	s_delay_alu instid0(VALU_DEP_1) | instskip(NEXT) | instid1(VALU_DEP_1)
	v_lshrrev_b32_e32 v0, 22, v0
	v_mul_lo_u16 v0, 0x96, v0
	s_delay_alu instid0(VALU_DEP_1) | instskip(NEXT) | instid1(VALU_DEP_1)
	v_sub_nc_u16 v10, v10, v0
	v_lshlrev_b16 v0, 5, v10
	s_delay_alu instid0(VALU_DEP_1) | instskip(NEXT) | instid1(VALU_DEP_1)
	v_and_b32_e32 v0, 0xffff, v0
	v_add_co_u32 v0, s1, s2, v0
	s_delay_alu instid0(VALU_DEP_1)
	v_add_co_ci_u32_e64 v1, null, s3, 0, s1
	s_clause 0x1
	global_load_b128 v[11:14], v[0:1], off offset:2240
	global_load_b128 v[15:18], v[0:1], off offset:2256
	v_cmp_lt_u16_e64 s1, 59, v21
	s_waitcnt vmcnt(1)
	v_mul_f64 v[0:1], v[54:55], v[13:14]
	v_mul_f64 v[2:3], v[52:53], v[13:14]
	scratch_store_b128 off, v[11:14], off offset:1456 ; 16-byte Folded Spill
	s_waitcnt vmcnt(0)
	scratch_store_b128 off, v[15:18], off offset:1472 ; 16-byte Folded Spill
	v_add_f64 v[13:14], v[178:179], v[180:181]
	s_waitcnt_vscnt null, 0x0
	s_barrier
	buffer_gl0_inv
	v_fma_f64 v[0:1], v[52:53], v[11:12], -v[0:1]
	v_fma_f64 v[46:47], v[54:55], v[11:12], v[2:3]
	v_mul_f64 v[11:12], v[64:65], v[17:18]
	v_mul_f64 v[2:3], v[66:67], v[17:18]
	v_fma_f64 v[13:14], v[13:14], -0.5, v[130:131]
	v_add_f64 v[17:18], v[128:129], v[170:171]
	s_delay_alu instid0(VALU_DEP_4)
	v_fma_f64 v[44:45], v[66:67], v[15:16], v[11:12]
	v_add_f64 v[11:12], v[170:171], v[176:177]
	v_fma_f64 v[2:3], v[64:65], v[15:16], -v[2:3]
	v_add_f64 v[15:16], v[130:131], v[178:179]
	v_add_f64 v[52:53], v[17:18], v[176:177]
	;; [unrolled: 1-line block ×3, first 2 shown]
	v_fma_f64 v[11:12], v[11:12], -0.5, v[128:129]
	s_delay_alu instid0(VALU_DEP_4) | instskip(SKIP_1) | instid1(VALU_DEP_3)
	v_add_f64 v[54:55], v[15:16], v[180:181]
	v_add_f64 v[15:16], v[170:171], -v[176:177]
	v_fma_f64 v[64:65], v[19:20], s[10:11], v[11:12]
	v_fma_f64 v[128:129], v[19:20], s[12:13], v[11:12]
	v_add_f64 v[11:12], v[166:167], v[168:169]
	s_delay_alu instid0(VALU_DEP_4)
	v_fma_f64 v[66:67], v[15:16], s[12:13], v[13:14]
	v_fma_f64 v[130:131], v[15:16], s[10:11], v[13:14]
	v_add_f64 v[13:14], v[172:173], v[174:175]
	v_add_f64 v[15:16], v[126:127], v[172:173]
	v_add_f64 v[19:20], v[172:173], -v[174:175]
	ds_store_b128 v192, v[52:55]
	ds_store_b128 v192, v[64:67] offset:2400
	ds_store_b128 v192, v[128:131] offset:4800
	v_fma_f64 v[11:12], v[11:12], -0.5, v[124:125]
	v_add_f64 v[124:125], v[17:18], v[168:169]
	v_fma_f64 v[13:14], v[13:14], -0.5, v[126:127]
	v_add_f64 v[126:127], v[15:16], v[174:175]
	v_add_f64 v[15:16], v[166:167], -v[168:169]
	v_add_f64 v[17:18], v[120:121], v[144:145]
	v_fma_f64 v[166:167], v[19:20], s[10:11], v[11:12]
	v_fma_f64 v[170:171], v[19:20], s[12:13], v[11:12]
	v_add_f64 v[11:12], v[144:145], v[140:141]
	v_add_f64 v[19:20], v[142:143], -v[136:137]
	v_fma_f64 v[168:169], v[15:16], s[12:13], v[13:14]
	v_fma_f64 v[172:173], v[15:16], s[10:11], v[13:14]
	v_add_f64 v[13:14], v[142:143], v[136:137]
	v_add_f64 v[15:16], v[122:123], v[142:143]
	v_fma_f64 v[11:12], v[11:12], -0.5, v[120:121]
	v_add_f64 v[120:121], v[17:18], v[140:141]
	v_add_f64 v[17:18], v[116:117], v[138:139]
	v_fma_f64 v[13:14], v[13:14], -0.5, v[122:123]
	v_add_f64 v[122:123], v[15:16], v[136:137]
	v_add_f64 v[15:16], v[144:145], -v[140:141]
	v_fma_f64 v[140:141], v[19:20], s[10:11], v[11:12]
	v_fma_f64 v[174:175], v[19:20], s[12:13], v[11:12]
	v_add_f64 v[11:12], v[138:139], v[146:147]
	v_add_f64 v[19:20], v[148:149], -v[150:151]
	v_add_f64 v[52:53], v[17:18], v[146:147]
	v_add_f64 v[17:18], v[112:113], v[153:154]
	v_fma_f64 v[142:143], v[15:16], s[12:13], v[13:14]
	v_fma_f64 v[176:177], v[15:16], s[10:11], v[13:14]
	v_add_f64 v[13:14], v[148:149], v[150:151]
	v_add_f64 v[15:16], v[118:119], v[148:149]
	v_fma_f64 v[11:12], v[11:12], -0.5, v[116:117]
	s_delay_alu instid0(VALU_DEP_3) | instskip(NEXT) | instid1(VALU_DEP_3)
	v_fma_f64 v[13:14], v[13:14], -0.5, v[118:119]
	v_add_f64 v[54:55], v[15:16], v[150:151]
	v_add_f64 v[15:16], v[138:139], -v[146:147]
	s_delay_alu instid0(VALU_DEP_4)
	v_fma_f64 v[64:65], v[19:20], s[10:11], v[11:12]
	v_fma_f64 v[116:117], v[19:20], s[12:13], v[11:12]
	v_add_f64 v[11:12], v[153:154], v[155:156]
	v_add_f64 v[19:20], v[157:158], -v[164:165]
	v_fma_f64 v[66:67], v[15:16], s[12:13], v[13:14]
	v_fma_f64 v[118:119], v[15:16], s[10:11], v[13:14]
	v_add_f64 v[13:14], v[157:158], v[164:165]
	v_add_f64 v[15:16], v[114:115], v[157:158]
	v_fma_f64 v[11:12], v[11:12], -0.5, v[112:113]
	v_add_f64 v[112:113], v[17:18], v[155:156]
	v_add_f64 v[17:18], v[100:101], v[182:183]
	v_fma_f64 v[13:14], v[13:14], -0.5, v[114:115]
	v_add_f64 v[114:115], v[15:16], v[164:165]
	v_add_f64 v[15:16], v[153:154], -v[155:156]
	v_fma_f64 v[128:129], v[19:20], s[10:11], v[11:12]
	v_fma_f64 v[136:137], v[19:20], s[12:13], v[11:12]
	v_add_f64 v[11:12], v[182:183], v[184:185]
	v_add_f64 v[19:20], v[186:187], -v[188:189]
	v_fma_f64 v[130:131], v[15:16], s[12:13], v[13:14]
	v_fma_f64 v[138:139], v[15:16], s[10:11], v[13:14]
	v_add_f64 v[13:14], v[186:187], v[188:189]
	v_add_f64 v[15:16], v[102:103], v[186:187]
	v_fma_f64 v[11:12], v[11:12], -0.5, v[100:101]
	v_add_f64 v[100:101], v[17:18], v[184:185]
	v_add_f64 v[17:18], v[96:97], v[190:191]
	v_fma_f64 v[13:14], v[13:14], -0.5, v[102:103]
	v_add_f64 v[102:103], v[15:16], v[188:189]
	v_add_f64 v[15:16], v[182:183], -v[184:185]
	;; [unrolled: 14-line block ×3, first 2 shown]
	v_fma_f64 v[182:183], v[19:20], s[10:11], v[11:12]
	v_fma_f64 v[186:187], v[19:20], s[12:13], v[11:12]
	v_add_f64 v[11:12], v[202:203], v[132:133]
	v_add_f64 v[19:20], v[134:135], -v[204:205]
	v_fma_f64 v[184:185], v[15:16], s[12:13], v[13:14]
	v_fma_f64 v[188:189], v[15:16], s[10:11], v[13:14]
	v_add_f64 v[13:14], v[134:135], v[204:205]
	v_add_f64 v[15:16], v[94:95], v[134:135]
	v_fma_f64 v[11:12], v[11:12], -0.5, v[92:93]
	v_add_f64 v[92:93], v[17:18], v[132:133]
	s_delay_alu instid0(VALU_DEP_4) | instskip(NEXT) | instid1(VALU_DEP_4)
	v_fma_f64 v[13:14], v[13:14], -0.5, v[94:95]
	v_add_f64 v[94:95], v[15:16], v[204:205]
	v_add_f64 v[15:16], v[202:203], -v[132:133]
	v_fma_f64 v[132:133], v[19:20], s[10:11], v[11:12]
	v_fma_f64 v[196:197], v[19:20], s[12:13], v[11:12]
	v_add_f64 v[11:12], v[0:1], v[2:3]
	s_delay_alu instid0(VALU_DEP_4) | instskip(SKIP_4) | instid1(VALU_DEP_3)
	v_fma_f64 v[134:135], v[15:16], s[12:13], v[13:14]
	v_fma_f64 v[198:199], v[15:16], s[10:11], v[13:14]
	v_add_f64 v[13:14], v[46:47], v[44:45]
	v_add_f64 v[15:16], v[46:47], -v[44:45]
	v_fma_f64 v[11:12], v[11:12], -0.5, v[76:77]
	v_fma_f64 v[13:14], v[13:14], -0.5, v[78:79]
	s_delay_alu instid0(VALU_DEP_2) | instskip(SKIP_2) | instid1(VALU_DEP_1)
	v_fma_f64 v[148:149], v[15:16], s[10:11], v[11:12]
	v_fma_f64 v[144:145], v[15:16], s[12:13], v[11:12]
	v_add_f64 v[11:12], v[0:1], -v[2:3]
	v_fma_f64 v[150:151], v[11:12], s[12:13], v[13:14]
	v_fma_f64 v[146:147], v[11:12], s[10:11], v[13:14]
	v_cndmask_b32_e64 v11, 0, 0x1c2, s1
	s_delay_alu instid0(VALU_DEP_1)
	v_add_lshl_u32 v11, v152, v11, 4
	ds_store_b128 v11, v[120:123]
	ds_store_b128 v11, v[140:143] offset:2400
	scratch_store_b32 off, v11, off offset:1424 ; 4-byte Folded Spill
	ds_store_b128 v11, v[174:177] offset:4800
	ds_store_b128 v192, v[124:127] offset:7680
	;; [unrolled: 1-line block ×4, first 2 shown]
	ds_store_b128 v4, v[52:55]
	ds_store_b128 v4, v[64:67] offset:2400
	scratch_store_b32 off, v4, off offset:1432 ; 4-byte Folded Spill
	ds_store_b128 v4, v[116:119] offset:4800
	v_and_b32_e32 v4, 0xffff, v7
	s_delay_alu instid0(VALU_DEP_1)
	v_lshlrev_b32_e32 v5, 4, v4
	v_and_b32_e32 v4, 0xffff, v159
	ds_store_b128 v5, v[112:115] offset:14400
	ds_store_b128 v5, v[128:131] offset:16800
	v_lshlrev_b32_e32 v4, 4, v4
	scratch_store_b32 off, v5, off offset:1436 ; 4-byte Folded Spill
	ds_store_b128 v5, v[136:139] offset:19200
	ds_store_b128 v4, v[100:103] offset:21600
	;; [unrolled: 1-line block ×3, first 2 shown]
	scratch_store_b32 off, v4, off offset:1428 ; 4-byte Folded Spill
	ds_store_b128 v4, v[178:181] offset:26400
	v_mad_u16 v4, 0x1c2, v8, v9
	s_delay_alu instid0(VALU_DEP_1) | instskip(NEXT) | instid1(VALU_DEP_1)
	v_and_b32_e32 v4, 0xffff, v4
	v_lshlrev_b32_e32 v4, 4, v4
	ds_store_b128 v4, v[96:99]
	ds_store_b128 v4, v[182:185] offset:2400
	scratch_store_b32 off, v4, off offset:1440 ; 4-byte Folded Spill
	ds_store_b128 v4, v[186:189] offset:4800
	v_and_b32_e32 v4, 0xffff, v6
	s_delay_alu instid0(VALU_DEP_1)
	v_lshlrev_b32_e32 v5, 4, v4
	v_and_b32_e32 v4, 0xffff, v10
	ds_store_b128 v5, v[132:135] offset:31200
	s_clause 0x1
	scratch_store_b32 off, v4, off offset:1444
	scratch_store_b32 off, v5, off offset:1448
	ds_store_b128 v5, v[92:95] offset:28800
	ds_store_b128 v5, v[196:199] offset:33600
	s_and_saveexec_b32 s1, s0
	s_cbranch_execz .LBB0_15
; %bb.14:
	v_add_f64 v[0:1], v[76:77], v[0:1]
	v_add_f64 v[4:5], v[78:79], v[46:47]
	s_delay_alu instid0(VALU_DEP_2)
	v_add_f64 v[2:3], v[0:1], v[2:3]
	scratch_load_b32 v0, off, off offset:1444 ; 4-byte Folded Reload
	v_add_f64 v[4:5], v[4:5], v[44:45]
	s_waitcnt vmcnt(0)
	v_lshlrev_b32_e32 v0, 4, v0
	ds_store_b128 v0, v[148:151] offset:31200
	ds_store_b128 v0, v[2:5] offset:28800
	;; [unrolled: 1-line block ×3, first 2 shown]
.LBB0_15:
	s_or_b32 exec_lo, exec_lo, s1
	scratch_load_b32 v0, off, off           ; 4-byte Folded Reload
	v_lshlrev_b32_e32 v2, 6, v195
	v_lshlrev_b32_e32 v3, 6, v194
	s_waitcnt vmcnt(0) lgkmcnt(0)
	s_waitcnt_vscnt null, 0x0
	s_barrier
	buffer_gl0_inv
	s_mov_b32 s12, 0x134454ff
	s_mov_b32 s13, 0x3fee6f0e
	;; [unrolled: 1-line block ×7, first 2 shown]
	v_lshlrev_b32_e32 v0, 6, v0
	s_delay_alu instid0(VALU_DEP_1) | instskip(NEXT) | instid1(VALU_DEP_1)
	v_add_co_u32 v4, s1, s2, v0
	v_add_co_ci_u32_e64 v5, null, s3, 0, s1
	s_delay_alu instid0(VALU_DEP_2) | instskip(NEXT) | instid1(VALU_DEP_1)
	v_add_co_u32 v0, s1, 0x1000, v4
	v_add_co_ci_u32_e64 v1, s1, 0, v5, s1
	v_add_co_u32 v6, s1, s2, v2
	s_delay_alu instid0(VALU_DEP_1) | instskip(SKIP_4) | instid1(VALU_DEP_1)
	v_add_co_ci_u32_e64 v7, null, s3, 0, s1
	v_add_co_u32 v8, s1, s2, v3
	global_load_b128 v[40:43], v[0:1], off offset:2944
	v_add_co_ci_u32_e64 v9, null, s3, 0, s1
	v_add_co_u32 v0, s1, 0x1000, v6
	v_add_co_ci_u32_e64 v1, s1, 0, v7, s1
	v_add_co_u32 v2, s1, 0x1000, v8
	s_delay_alu instid0(VALU_DEP_1) | instskip(SKIP_4) | instid1(VALU_DEP_1)
	v_add_co_ci_u32_e64 v3, s1, 0, v9, s1
	s_clause 0x1
	global_load_b128 v[44:47], v[0:1], off offset:2944
	global_load_b128 v[36:39], v[2:3], off offset:2944
	v_add_co_u32 v2, s1, 0x1b80, v4
	v_add_co_ci_u32_e64 v3, s1, 0, v5, s1
	v_add_co_u32 v0, s1, 0x1b80, v6
	s_delay_alu instid0(VALU_DEP_1)
	v_add_co_ci_u32_e64 v1, s1, 0, v7, s1
	s_clause 0x2
	global_load_b128 v[92:95], v[2:3], off offset:16
	global_load_b128 v[48:51], v[0:1], off offset:16
	;; [unrolled: 1-line block ×3, first 2 shown]
	v_add_co_u32 v100, s1, 0x1b80, v8
	s_delay_alu instid0(VALU_DEP_1)
	v_add_co_ci_u32_e64 v101, s1, 0, v9, s1
	s_clause 0x4
	global_load_b128 v[52:55], v[100:101], off offset:16
	global_load_b128 v[56:59], v[2:3], off offset:48
	global_load_b128 v[64:67], v[0:1], off offset:32
	global_load_b128 v[196:199], v[0:1], off offset:48
	global_load_b128 v[60:63], v[100:101], off offset:32
	ds_load_b128 v[116:119], v192 offset:7200
	ds_load_b128 v[112:115], v192 offset:8640
	;; [unrolled: 1-line block ×4, first 2 shown]
	global_load_b128 v[100:103], v[100:101], off offset:48
	ds_load_b128 v[8:11], v192 offset:14400
	ds_load_b128 v[120:123], v192 offset:15840
	;; [unrolled: 1-line block ×6, first 2 shown]
	s_waitcnt vmcnt(11) lgkmcnt(9)
	v_mul_f64 v[12:13], v[118:119], v[42:43]
	v_mul_f64 v[14:15], v[116:117], v[42:43]
	scratch_store_b128 off, v[40:43], off offset:780 ; 16-byte Folded Spill
	s_waitcnt vmcnt(10)
	scratch_store_b128 off, v[44:47], off offset:796 ; 16-byte Folded Spill
	s_waitcnt vmcnt(9) lgkmcnt(7)
	v_mul_f64 v[20:21], v[2:3], v[38:39]
	v_mul_f64 v[22:23], v[0:1], v[38:39]
	;; [unrolled: 1-line block ×4, first 2 shown]
	scratch_store_b128 off, v[36:39], off offset:764 ; 16-byte Folded Spill
	s_waitcnt vmcnt(8) lgkmcnt(5)
	v_mul_f64 v[24:25], v[10:11], v[94:95]
	v_mul_f64 v[26:27], v[8:9], v[94:95]
	s_waitcnt vmcnt(7)
	scratch_store_b128 off, v[48:51], off offset:844 ; 16-byte Folded Spill
	s_waitcnt lgkmcnt(4)
	v_mul_f64 v[28:29], v[122:123], v[50:51]
	v_mul_f64 v[30:31], v[120:121], v[50:51]
	s_waitcnt vmcnt(6) lgkmcnt(1)
	v_mul_f64 v[32:33], v[126:127], v[98:99]
	v_mul_f64 v[34:35], v[124:125], v[98:99]
	s_waitcnt vmcnt(5)
	v_mul_f64 v[38:39], v[128:129], v[54:55]
	scratch_store_b128 off, v[52:55], off offset:1296 ; 16-byte Folded Spill
	s_waitcnt vmcnt(4)
	scratch_store_b128 off, v[56:59], off offset:1344 ; 16-byte Folded Spill
	s_waitcnt vmcnt(3)
	;; [unrolled: 2-line block ×3, first 2 shown]
	scratch_store_b128 off, v[60:63], off offset:1392 ; 16-byte Folded Spill
	v_fma_f64 v[12:13], v[116:117], v[40:41], -v[12:13]
	v_fma_f64 v[14:15], v[118:119], v[40:41], v[14:15]
	v_fma_f64 v[20:21], v[0:1], v[36:37], -v[20:21]
	v_fma_f64 v[22:23], v[2:3], v[36:37], v[22:23]
	ds_load_b128 v[0:3], v192 offset:28800
	v_fma_f64 v[16:17], v[112:113], v[44:45], -v[16:17]
	v_fma_f64 v[18:19], v[114:115], v[44:45], v[18:19]
	ds_load_b128 v[112:115], v192 offset:23040
	v_mul_f64 v[36:37], v[130:131], v[54:55]
	v_fma_f64 v[24:25], v[8:9], v[92:93], -v[24:25]
	v_fma_f64 v[26:27], v[10:11], v[92:93], v[26:27]
	ds_load_b128 v[8:11], v192 offset:30240
	v_fma_f64 v[28:29], v[120:121], v[48:49], -v[28:29]
	v_fma_f64 v[30:31], v[122:123], v[48:49], v[30:31]
	v_fma_f64 v[32:33], v[124:125], v[96:97], -v[32:33]
	v_fma_f64 v[34:35], v[126:127], v[96:97], v[34:35]
	v_fma_f64 v[38:39], v[130:131], v[52:53], v[38:39]
	s_waitcnt lgkmcnt(2)
	v_mul_f64 v[40:41], v[0:1], v[58:59]
	v_mul_f64 v[42:43], v[2:3], v[58:59]
	s_waitcnt lgkmcnt(0)
	v_mul_f64 v[48:49], v[10:11], v[198:199]
	v_fma_f64 v[36:37], v[128:129], v[52:53], -v[36:37]
	v_add_f64 v[184:185], v[24:25], -v[32:33]
	v_add_f64 v[180:181], v[26:27], -v[34:35]
	v_fma_f64 v[40:41], v[2:3], v[56:57], v[40:41]
	v_fma_f64 v[42:43], v[0:1], v[56:57], -v[42:43]
	ds_load_b128 v[0:3], v192 offset:24480
	v_mul_f64 v[44:45], v[114:115], v[66:67]
	v_mul_f64 v[46:47], v[112:113], v[66:67]
	v_fma_f64 v[48:49], v[8:9], v[196:197], -v[48:49]
	v_mul_f64 v[8:9], v[8:9], v[198:199]
	v_add_f64 v[182:183], v[12:13], -v[42:43]
	v_fma_f64 v[44:45], v[112:113], v[64:65], -v[44:45]
	v_fma_f64 v[46:47], v[114:115], v[64:65], v[46:47]
	s_delay_alu instid0(VALU_DEP_4) | instskip(SKIP_2) | instid1(VALU_DEP_1)
	v_fma_f64 v[50:51], v[10:11], v[196:197], v[8:9]
	s_waitcnt lgkmcnt(0)
	v_mul_f64 v[8:9], v[2:3], v[62:63]
	v_fma_f64 v[52:53], v[0:1], v[60:61], -v[8:9]
	v_mul_f64 v[0:1], v[0:1], v[62:63]
	s_delay_alu instid0(VALU_DEP_1) | instskip(SKIP_3) | instid1(VALU_DEP_1)
	v_fma_f64 v[54:55], v[2:3], v[60:61], v[0:1]
	ds_load_b128 v[0:3], v192 offset:31680
	s_waitcnt vmcnt(0) lgkmcnt(0)
	v_mul_f64 v[8:9], v[2:3], v[102:103]
	v_fma_f64 v[56:57], v[0:1], v[100:101], -v[8:9]
	v_mul_f64 v[0:1], v[0:1], v[102:103]
	s_delay_alu instid0(VALU_DEP_1) | instskip(SKIP_1) | instid1(VALU_DEP_1)
	v_fma_f64 v[58:59], v[2:3], v[100:101], v[0:1]
	v_lshlrev_b64 v[0:1], 6, v[160:161]
	v_add_co_u32 v2, s1, s2, v0
	s_delay_alu instid0(VALU_DEP_1) | instskip(NEXT) | instid1(VALU_DEP_2)
	v_add_co_ci_u32_e64 v3, s1, s3, v1, s1
	v_add_co_u32 v0, s1, 0x1000, v2
	s_delay_alu instid0(VALU_DEP_1) | instskip(SKIP_1) | instid1(VALU_DEP_1)
	v_add_co_ci_u32_e64 v1, s1, 0, v3, s1
	v_add_co_u32 v60, s1, 0x1b80, v2
	v_add_co_ci_u32_e64 v61, s1, 0, v3, s1
	global_load_b128 v[120:123], v[0:1], off offset:2944
	ds_load_b128 v[0:3], v192 offset:11520
	ds_load_b128 v[8:11], v192 offset:12960
	s_clause 0x2
	global_load_b128 v[112:115], v[60:61], off offset:48
	global_load_b128 v[128:131], v[60:61], off offset:16
	;; [unrolled: 1-line block ×3, first 2 shown]
	s_waitcnt vmcnt(3) lgkmcnt(1)
	v_mul_f64 v[62:63], v[2:3], v[122:123]
	s_delay_alu instid0(VALU_DEP_1) | instskip(SKIP_1) | instid1(VALU_DEP_1)
	v_fma_f64 v[62:63], v[0:1], v[120:121], -v[62:63]
	v_mul_f64 v[0:1], v[0:1], v[122:123]
	v_fma_f64 v[64:65], v[2:3], v[120:121], v[0:1]
	s_waitcnt vmcnt(1)
	v_mul_f64 v[0:1], v[134:135], v[130:131]
	s_delay_alu instid0(VALU_DEP_1) | instskip(SKIP_1) | instid1(VALU_DEP_1)
	v_fma_f64 v[60:61], v[132:133], v[128:129], -v[0:1]
	v_mul_f64 v[0:1], v[132:133], v[130:131]
	v_fma_f64 v[66:67], v[134:135], v[128:129], v[0:1]
	ds_load_b128 v[0:3], v192 offset:25920
	ds_load_b128 v[156:159], v192 offset:27360
	s_waitcnt vmcnt(0) lgkmcnt(1)
	v_mul_f64 v[68:69], v[2:3], v[118:119]
	s_delay_alu instid0(VALU_DEP_1) | instskip(SKIP_1) | instid1(VALU_DEP_1)
	v_fma_f64 v[68:69], v[0:1], v[116:117], -v[68:69]
	v_mul_f64 v[0:1], v[0:1], v[118:119]
	v_fma_f64 v[70:71], v[2:3], v[116:117], v[0:1]
	ds_load_b128 v[0:3], v192 offset:33120
	ds_load_b128 v[164:167], v192 offset:34560
	s_waitcnt lgkmcnt(1)
	v_mul_f64 v[72:73], v[2:3], v[114:115]
	s_delay_alu instid0(VALU_DEP_1) | instskip(SKIP_1) | instid1(VALU_DEP_1)
	v_fma_f64 v[72:73], v[0:1], v[112:113], -v[72:73]
	v_mul_f64 v[0:1], v[0:1], v[114:115]
	v_fma_f64 v[74:75], v[2:3], v[112:113], v[0:1]
	v_lshlrev_b64 v[0:1], 6, v[162:163]
	s_delay_alu instid0(VALU_DEP_1) | instskip(NEXT) | instid1(VALU_DEP_1)
	v_add_co_u32 v2, s1, s2, v0
	v_add_co_ci_u32_e64 v3, s1, s3, v1, s1
	s_mov_b32 s2, 0x4755a5e
	s_delay_alu instid0(VALU_DEP_2) | instskip(NEXT) | instid1(VALU_DEP_1)
	v_add_co_u32 v0, s1, 0x1000, v2
	v_add_co_ci_u32_e64 v1, s1, 0, v3, s1
	v_add_co_u32 v2, s1, 0x1b80, v2
	s_delay_alu instid0(VALU_DEP_1)
	v_add_co_ci_u32_e64 v3, s1, 0, v3, s1
	s_clause 0x3
	global_load_b128 v[136:139], v[0:1], off offset:2944
	global_load_b128 v[124:127], v[2:3], off offset:48
	;; [unrolled: 1-line block ×4, first 2 shown]
	v_add_f64 v[2:3], v[42:43], -v[32:33]
	s_mov_b32 s3, 0x3fe2cf23
	s_mov_b32 s10, s2
	s_waitcnt vmcnt(3)
	v_mul_f64 v[0:1], v[10:11], v[138:139]
	s_delay_alu instid0(VALU_DEP_1) | instskip(SKIP_1) | instid1(VALU_DEP_1)
	v_fma_f64 v[76:77], v[8:9], v[136:137], -v[0:1]
	v_mul_f64 v[0:1], v[8:9], v[138:139]
	v_fma_f64 v[78:79], v[10:11], v[136:137], v[0:1]
	s_waitcnt vmcnt(1)
	v_mul_f64 v[0:1], v[154:155], v[142:143]
	s_delay_alu instid0(VALU_DEP_1) | instskip(SKIP_1) | instid1(VALU_DEP_1)
	v_fma_f64 v[160:161], v[152:153], v[140:141], -v[0:1]
	v_mul_f64 v[0:1], v[152:153], v[142:143]
	v_fma_f64 v[162:163], v[154:155], v[140:141], v[0:1]
	s_waitcnt vmcnt(0)
	v_mul_f64 v[0:1], v[158:159], v[134:135]
	s_delay_alu instid0(VALU_DEP_1) | instskip(SKIP_2) | instid1(VALU_DEP_2)
	v_fma_f64 v[168:169], v[156:157], v[132:133], -v[0:1]
	v_mul_f64 v[0:1], v[156:157], v[134:135]
	v_add_f64 v[156:157], v[24:25], v[32:33]
	v_fma_f64 v[194:195], v[158:159], v[132:133], v[0:1]
	s_waitcnt lgkmcnt(0)
	v_mul_f64 v[0:1], v[166:167], v[126:127]
	v_add_f64 v[158:159], v[26:27], v[34:35]
	s_delay_alu instid0(VALU_DEP_2) | instskip(SKIP_1) | instid1(VALU_DEP_1)
	v_fma_f64 v[170:171], v[164:165], v[124:125], -v[0:1]
	v_mul_f64 v[0:1], v[164:165], v[126:127]
	v_fma_f64 v[164:165], v[166:167], v[124:125], v[0:1]
	v_add_f64 v[0:1], v[12:13], -v[24:25]
	v_add_f64 v[166:167], v[14:15], -v[40:41]
	s_delay_alu instid0(VALU_DEP_2) | instskip(SKIP_2) | instid1(VALU_DEP_1)
	v_add_f64 v[152:153], v[0:1], v[2:3]
	v_add_f64 v[0:1], v[14:15], -v[26:27]
	v_add_f64 v[2:3], v[40:41], -v[34:35]
	v_add_f64 v[154:155], v[0:1], v[2:3]
	ds_load_b128 v[0:3], v192
	ds_load_b128 v[8:11], v192 offset:1440
	s_waitcnt lgkmcnt(1)
	v_fma_f64 v[156:157], v[156:157], -0.5, v[0:1]
	v_fma_f64 v[158:159], v[158:159], -0.5, v[2:3]
	s_delay_alu instid0(VALU_DEP_2) | instskip(NEXT) | instid1(VALU_DEP_2)
	v_fma_f64 v[172:173], v[166:167], s[12:13], v[156:157]
	v_fma_f64 v[174:175], v[182:183], s[14:15], v[158:159]
	;; [unrolled: 1-line block ×4, first 2 shown]
	s_delay_alu instid0(VALU_DEP_4) | instskip(NEXT) | instid1(VALU_DEP_4)
	v_fma_f64 v[172:173], v[180:181], s[2:3], v[172:173]
	v_fma_f64 v[174:175], v[184:185], s[10:11], v[174:175]
	s_delay_alu instid0(VALU_DEP_4) | instskip(NEXT) | instid1(VALU_DEP_4)
	v_fma_f64 v[156:157], v[180:181], s[10:11], v[156:157]
	v_fma_f64 v[158:159], v[184:185], s[2:3], v[158:159]
	;; [unrolled: 3-line block ×4, first 2 shown]
	v_add_f64 v[152:153], v[12:13], v[42:43]
	v_add_f64 v[154:155], v[14:15], v[40:41]
	s_delay_alu instid0(VALU_DEP_2) | instskip(NEXT) | instid1(VALU_DEP_2)
	v_fma_f64 v[152:153], v[152:153], -0.5, v[0:1]
	v_fma_f64 v[154:155], v[154:155], -0.5, v[2:3]
	v_add_f64 v[0:1], v[0:1], v[12:13]
	v_add_f64 v[2:3], v[2:3], v[14:15]
	v_add_f64 v[12:13], v[24:25], -v[12:13]
	v_add_f64 v[14:15], v[26:27], -v[14:15]
	s_delay_alu instid0(VALU_DEP_4) | instskip(NEXT) | instid1(VALU_DEP_4)
	v_add_f64 v[0:1], v[0:1], v[24:25]
	v_add_f64 v[2:3], v[2:3], v[26:27]
	v_add_f64 v[24:25], v[32:33], -v[42:43]
	v_add_f64 v[26:27], v[34:35], -v[40:41]
	s_delay_alu instid0(VALU_DEP_4) | instskip(NEXT) | instid1(VALU_DEP_4)
	v_add_f64 v[0:1], v[0:1], v[32:33]
	v_add_f64 v[2:3], v[2:3], v[34:35]
	v_fma_f64 v[32:33], v[180:181], s[14:15], v[152:153]
	v_fma_f64 v[34:35], v[180:181], s[12:13], v[152:153]
	v_add_f64 v[12:13], v[12:13], v[24:25]
	v_add_f64 v[14:15], v[14:15], v[26:27]
	v_add_f64 v[152:153], v[28:29], -v[44:45]
	v_add_f64 v[0:1], v[0:1], v[42:43]
	v_add_f64 v[2:3], v[2:3], v[40:41]
	v_fma_f64 v[40:41], v[184:185], s[12:13], v[154:155]
	v_fma_f64 v[42:43], v[184:185], s[14:15], v[154:155]
	;; [unrolled: 1-line block ×4, first 2 shown]
	s_delay_alu instid0(VALU_DEP_4) | instskip(NEXT) | instid1(VALU_DEP_4)
	v_fma_f64 v[32:33], v[182:183], s[10:11], v[40:41]
	v_fma_f64 v[34:35], v[182:183], s[2:3], v[42:43]
	s_delay_alu instid0(VALU_DEP_4) | instskip(NEXT) | instid1(VALU_DEP_4)
	v_fma_f64 v[180:181], v[12:13], s[16:17], v[24:25]
	v_fma_f64 v[184:185], v[12:13], s[16:17], v[26:27]
	v_add_f64 v[12:13], v[16:17], -v[28:29]
	v_add_f64 v[24:25], v[50:51], -v[46:47]
	v_add_f64 v[26:27], v[30:31], v[46:47]
	v_add_f64 v[42:43], v[16:17], -v[48:49]
	v_fma_f64 v[182:183], v[14:15], s[16:17], v[32:33]
	v_fma_f64 v[186:187], v[14:15], s[16:17], v[34:35]
	v_add_f64 v[14:15], v[48:49], -v[44:45]
	v_add_f64 v[32:33], v[18:19], -v[50:51]
	;; [unrolled: 1-line block ×3, first 2 shown]
	s_waitcnt lgkmcnt(0)
	v_fma_f64 v[26:27], v[26:27], -0.5, v[10:11]
	s_delay_alu instid0(VALU_DEP_4) | instskip(SKIP_1) | instid1(VALU_DEP_3)
	v_add_f64 v[12:13], v[12:13], v[14:15]
	v_add_f64 v[14:15], v[18:19], -v[30:31]
	v_fma_f64 v[154:155], v[42:43], s[14:15], v[26:27]
	v_fma_f64 v[26:27], v[42:43], s[12:13], v[26:27]
	s_delay_alu instid0(VALU_DEP_3) | instskip(SKIP_1) | instid1(VALU_DEP_4)
	v_add_f64 v[14:15], v[14:15], v[24:25]
	v_add_f64 v[24:25], v[28:29], v[44:45]
	v_fma_f64 v[154:155], v[152:153], s[10:11], v[154:155]
	s_delay_alu instid0(VALU_DEP_4) | instskip(NEXT) | instid1(VALU_DEP_3)
	v_fma_f64 v[26:27], v[152:153], s[2:3], v[26:27]
	v_fma_f64 v[24:25], v[24:25], -0.5, v[8:9]
	s_delay_alu instid0(VALU_DEP_3) | instskip(NEXT) | instid1(VALU_DEP_3)
	v_fma_f64 v[190:191], v[14:15], s[16:17], v[154:155]
	v_fma_f64 v[202:203], v[14:15], s[16:17], v[26:27]
	v_add_f64 v[14:15], v[18:19], v[50:51]
	v_add_f64 v[26:27], v[46:47], -v[50:51]
	v_fma_f64 v[40:41], v[32:33], s[12:13], v[24:25]
	v_fma_f64 v[24:25], v[32:33], s[14:15], v[24:25]
	s_delay_alu instid0(VALU_DEP_4) | instskip(SKIP_4) | instid1(VALU_DEP_4)
	v_fma_f64 v[14:15], v[14:15], -0.5, v[10:11]
	v_add_f64 v[10:11], v[10:11], v[18:19]
	v_add_f64 v[18:19], v[30:31], -v[18:19]
	v_fma_f64 v[40:41], v[34:35], s[2:3], v[40:41]
	v_fma_f64 v[24:25], v[34:35], s[10:11], v[24:25]
	v_add_f64 v[10:11], v[10:11], v[30:31]
	v_fma_f64 v[30:31], v[152:153], s[12:13], v[14:15]
	v_fma_f64 v[14:15], v[152:153], s[14:15], v[14:15]
	v_add_f64 v[18:19], v[18:19], v[26:27]
	ds_load_b128 v[152:155], v192 offset:2880
	ds_load_b128 v[156:159], v192 offset:4320
	v_fma_f64 v[188:189], v[12:13], s[16:17], v[40:41]
	v_fma_f64 v[200:201], v[12:13], s[16:17], v[24:25]
	v_add_f64 v[12:13], v[16:17], v[48:49]
	v_add_f64 v[24:25], v[44:45], -v[48:49]
	v_add_f64 v[10:11], v[10:11], v[46:47]
	v_fma_f64 v[26:27], v[42:43], s[10:11], v[30:31]
	v_fma_f64 v[14:15], v[42:43], s[2:3], v[14:15]
	v_add_f64 v[30:31], v[20:21], -v[56:57]
	v_fma_f64 v[12:13], v[12:13], -0.5, v[8:9]
	v_add_f64 v[8:9], v[8:9], v[16:17]
	v_add_f64 v[16:17], v[28:29], -v[16:17]
	v_add_f64 v[10:11], v[10:11], v[50:51]
	v_fma_f64 v[206:207], v[18:19], s[16:17], v[26:27]
	v_fma_f64 v[210:211], v[18:19], s[16:17], v[14:15]
	v_add_f64 v[14:15], v[56:57], -v[52:53]
	v_add_f64 v[18:19], v[38:39], v[54:55]
	v_add_f64 v[26:27], v[38:39], -v[54:55]
	v_add_f64 v[8:9], v[8:9], v[28:29]
	v_fma_f64 v[28:29], v[34:35], s[14:15], v[12:13]
	v_fma_f64 v[12:13], v[34:35], s[12:13], v[12:13]
	v_add_f64 v[16:17], v[16:17], v[24:25]
	s_waitcnt lgkmcnt(1)
	v_fma_f64 v[18:19], v[18:19], -0.5, v[154:155]
	v_add_f64 v[8:9], v[8:9], v[44:45]
	v_fma_f64 v[24:25], v[32:33], s[2:3], v[28:29]
	v_fma_f64 v[12:13], v[32:33], s[10:11], v[12:13]
	v_add_f64 v[32:33], v[36:37], -v[52:53]
	v_fma_f64 v[34:35], v[30:31], s[14:15], v[18:19]
	v_fma_f64 v[18:19], v[30:31], s[12:13], v[18:19]
	v_add_f64 v[8:9], v[8:9], v[48:49]
	v_fma_f64 v[204:205], v[16:17], s[16:17], v[24:25]
	v_fma_f64 v[208:209], v[16:17], s[16:17], v[12:13]
	v_add_f64 v[12:13], v[20:21], -v[36:37]
	v_add_f64 v[16:17], v[58:59], -v[54:55]
	;; [unrolled: 1-line block ×3, first 2 shown]
	v_fma_f64 v[34:35], v[32:33], s[10:11], v[34:35]
	v_fma_f64 v[18:19], v[32:33], s[2:3], v[18:19]
	v_add_f64 v[12:13], v[12:13], v[14:15]
	v_add_f64 v[14:15], v[22:23], -v[38:39]
	s_delay_alu instid0(VALU_DEP_1) | instskip(SKIP_1) | instid1(VALU_DEP_2)
	v_add_f64 v[14:15], v[14:15], v[16:17]
	v_add_f64 v[16:17], v[36:37], v[52:53]
	v_fma_f64 v[218:219], v[14:15], s[16:17], v[18:19]
	s_delay_alu instid0(VALU_DEP_2) | instskip(SKIP_3) | instid1(VALU_DEP_4)
	v_fma_f64 v[16:17], v[16:17], -0.5, v[152:153]
	v_add_f64 v[18:19], v[152:153], v[20:21]
	v_fma_f64 v[214:215], v[14:15], s[16:17], v[34:35]
	v_add_f64 v[14:15], v[22:23], v[58:59]
	v_fma_f64 v[28:29], v[24:25], s[12:13], v[16:17]
	v_fma_f64 v[16:17], v[24:25], s[14:15], v[16:17]
	v_add_f64 v[18:19], v[18:19], v[36:37]
	s_delay_alu instid0(VALU_DEP_4) | instskip(NEXT) | instid1(VALU_DEP_4)
	v_fma_f64 v[14:15], v[14:15], -0.5, v[154:155]
	v_fma_f64 v[28:29], v[26:27], s[2:3], v[28:29]
	s_delay_alu instid0(VALU_DEP_4) | instskip(NEXT) | instid1(VALU_DEP_4)
	v_fma_f64 v[16:17], v[26:27], s[10:11], v[16:17]
	v_add_f64 v[18:19], v[18:19], v[52:53]
	s_delay_alu instid0(VALU_DEP_3) | instskip(NEXT) | instid1(VALU_DEP_3)
	v_fma_f64 v[212:213], v[12:13], s[16:17], v[28:29]
	v_fma_f64 v[216:217], v[12:13], s[16:17], v[16:17]
	v_add_f64 v[16:17], v[154:155], v[22:23]
	v_add_f64 v[12:13], v[20:21], v[56:57]
	v_add_f64 v[22:23], v[38:39], -v[22:23]
	v_add_f64 v[20:21], v[36:37], -v[20:21]
	;; [unrolled: 1-line block ×3, first 2 shown]
	v_add_f64 v[220:221], v[18:19], v[56:57]
	v_add_f64 v[16:17], v[16:17], v[38:39]
	v_fma_f64 v[12:13], v[12:13], -0.5, v[152:153]
	s_delay_alu instid0(VALU_DEP_4) | instskip(SKIP_1) | instid1(VALU_DEP_4)
	v_add_f64 v[20:21], v[20:21], v[28:29]
	v_add_f64 v[28:29], v[60:61], -v[68:69]
	v_add_f64 v[16:17], v[16:17], v[54:55]
	s_delay_alu instid0(VALU_DEP_4)
	v_fma_f64 v[18:19], v[26:27], s[14:15], v[12:13]
	v_fma_f64 v[12:13], v[26:27], s[12:13], v[12:13]
	;; [unrolled: 1-line block ×4, first 2 shown]
	v_add_f64 v[32:33], v[68:69], -v[72:73]
	v_add_f64 v[222:223], v[16:17], v[58:59]
	v_add_f64 v[16:17], v[54:55], -v[58:59]
	v_fma_f64 v[12:13], v[24:25], s[10:11], v[12:13]
	v_fma_f64 v[18:19], v[24:25], s[2:3], v[18:19]
	;; [unrolled: 1-line block ×3, first 2 shown]
	s_delay_alu instid0(VALU_DEP_4)
	v_add_f64 v[16:17], v[22:23], v[16:17]
	v_fma_f64 v[22:23], v[30:31], s[10:11], v[26:27]
	v_fma_f64 v[228:229], v[20:21], s[16:17], v[12:13]
	v_add_f64 v[12:13], v[62:63], -v[60:61]
	v_fma_f64 v[224:225], v[20:21], s[16:17], v[18:19]
	v_add_f64 v[18:19], v[66:67], v[70:71]
	v_add_f64 v[20:21], v[64:65], -v[74:75]
	v_add_f64 v[26:27], v[62:63], -v[72:73]
	v_fma_f64 v[230:231], v[16:17], s[16:17], v[14:15]
	v_add_f64 v[14:15], v[72:73], -v[68:69]
	v_fma_f64 v[226:227], v[16:17], s[16:17], v[22:23]
	v_add_f64 v[16:17], v[74:75], -v[70:71]
	v_add_f64 v[22:23], v[66:67], -v[70:71]
	s_waitcnt lgkmcnt(0)
	v_fma_f64 v[18:19], v[18:19], -0.5, v[158:159]
	v_add_f64 v[12:13], v[12:13], v[14:15]
	v_add_f64 v[14:15], v[64:65], -v[66:67]
	s_delay_alu instid0(VALU_DEP_3) | instskip(SKIP_1) | instid1(VALU_DEP_3)
	v_fma_f64 v[30:31], v[26:27], s[14:15], v[18:19]
	v_fma_f64 v[18:19], v[26:27], s[12:13], v[18:19]
	v_add_f64 v[14:15], v[14:15], v[16:17]
	v_add_f64 v[16:17], v[60:61], v[68:69]
	s_delay_alu instid0(VALU_DEP_4) | instskip(NEXT) | instid1(VALU_DEP_4)
	v_fma_f64 v[30:31], v[28:29], s[10:11], v[30:31]
	v_fma_f64 v[18:19], v[28:29], s[2:3], v[18:19]
	s_delay_alu instid0(VALU_DEP_3) | instskip(NEXT) | instid1(VALU_DEP_3)
	v_fma_f64 v[16:17], v[16:17], -0.5, v[156:157]
	v_fma_f64 v[234:235], v[14:15], s[16:17], v[30:31]
	s_delay_alu instid0(VALU_DEP_3)
	v_fma_f64 v[238:239], v[14:15], s[16:17], v[18:19]
	v_add_f64 v[18:19], v[158:159], v[64:65]
	v_add_f64 v[14:15], v[64:65], v[74:75]
	v_add_f64 v[30:31], v[66:67], -v[64:65]
	v_fma_f64 v[24:25], v[20:21], s[12:13], v[16:17]
	v_fma_f64 v[16:17], v[20:21], s[14:15], v[16:17]
	v_add_f64 v[18:19], v[18:19], v[66:67]
	v_fma_f64 v[14:15], v[14:15], -0.5, v[158:159]
	s_delay_alu instid0(VALU_DEP_4) | instskip(NEXT) | instid1(VALU_DEP_4)
	v_fma_f64 v[24:25], v[22:23], s[2:3], v[24:25]
	v_fma_f64 v[16:17], v[22:23], s[10:11], v[16:17]
	s_delay_alu instid0(VALU_DEP_4) | instskip(NEXT) | instid1(VALU_DEP_3)
	v_add_f64 v[18:19], v[18:19], v[70:71]
	v_fma_f64 v[232:233], v[12:13], s[16:17], v[24:25]
	s_delay_alu instid0(VALU_DEP_3) | instskip(SKIP_4) | instid1(VALU_DEP_4)
	v_fma_f64 v[236:237], v[12:13], s[16:17], v[16:17]
	v_add_f64 v[16:17], v[156:157], v[62:63]
	v_add_f64 v[12:13], v[62:63], v[72:73]
	v_add_f64 v[24:25], v[60:61], -v[62:63]
	v_add_f64 v[242:243], v[18:19], v[74:75]
	v_add_f64 v[16:17], v[16:17], v[60:61]
	s_delay_alu instid0(VALU_DEP_4) | instskip(NEXT) | instid1(VALU_DEP_4)
	v_fma_f64 v[12:13], v[12:13], -0.5, v[156:157]
	v_add_f64 v[24:25], v[24:25], v[32:33]
	s_delay_alu instid0(VALU_DEP_3) | instskip(NEXT) | instid1(VALU_DEP_3)
	v_add_f64 v[16:17], v[16:17], v[68:69]
	v_fma_f64 v[18:19], v[22:23], s[14:15], v[12:13]
	v_fma_f64 v[12:13], v[22:23], s[12:13], v[12:13]
	;; [unrolled: 1-line block ×4, first 2 shown]
	v_add_f64 v[28:29], v[76:77], -v[170:171]
	v_add_f64 v[240:241], v[16:17], v[72:73]
	v_add_f64 v[16:17], v[70:71], -v[74:75]
	v_fma_f64 v[12:13], v[20:21], s[10:11], v[12:13]
	v_fma_f64 v[18:19], v[20:21], s[2:3], v[18:19]
	;; [unrolled: 1-line block ×4, first 2 shown]
	v_add_f64 v[26:27], v[160:161], -v[168:169]
	v_add_f64 v[22:23], v[78:79], -v[164:165]
	v_add_f64 v[16:17], v[30:31], v[16:17]
	v_fma_f64 v[248:249], v[24:25], s[16:17], v[12:13]
	v_add_f64 v[12:13], v[160:161], -v[76:77]
	v_fma_f64 v[244:245], v[24:25], s[16:17], v[18:19]
	v_add_f64 v[18:19], v[78:79], v[164:165]
	v_fma_f64 v[250:251], v[16:17], s[16:17], v[14:15]
	v_add_f64 v[14:15], v[168:169], -v[170:171]
	v_fma_f64 v[246:247], v[16:17], s[16:17], v[20:21]
	v_add_f64 v[16:17], v[194:195], -v[164:165]
	v_fma_f64 v[18:19], v[18:19], -0.5, v[6:7]
	v_add_f64 v[20:21], v[162:163], -v[194:195]
	v_add_f64 v[12:13], v[12:13], v[14:15]
	v_add_f64 v[14:15], v[162:163], -v[78:79]
	s_delay_alu instid0(VALU_DEP_4) | instskip(SKIP_1) | instid1(VALU_DEP_3)
	v_fma_f64 v[30:31], v[26:27], s[12:13], v[18:19]
	v_fma_f64 v[18:19], v[26:27], s[14:15], v[18:19]
	v_add_f64 v[14:15], v[14:15], v[16:17]
	v_add_f64 v[16:17], v[76:77], v[170:171]
	s_delay_alu instid0(VALU_DEP_4) | instskip(NEXT) | instid1(VALU_DEP_4)
	v_fma_f64 v[30:31], v[28:29], s[10:11], v[30:31]
	v_fma_f64 v[18:19], v[28:29], s[2:3], v[18:19]
	s_delay_alu instid0(VALU_DEP_3) | instskip(NEXT) | instid1(VALU_DEP_3)
	v_fma_f64 v[16:17], v[16:17], -0.5, v[4:5]
	v_fma_f64 v[154:155], v[14:15], s[16:17], v[30:31]
	s_delay_alu instid0(VALU_DEP_3) | instskip(SKIP_4) | instid1(VALU_DEP_4)
	v_fma_f64 v[158:159], v[14:15], s[16:17], v[18:19]
	v_add_f64 v[14:15], v[162:163], v[194:195]
	v_add_f64 v[18:19], v[78:79], -v[162:163]
	v_fma_f64 v[24:25], v[20:21], s[14:15], v[16:17]
	v_fma_f64 v[16:17], v[20:21], s[12:13], v[16:17]
	v_fma_f64 v[14:15], v[14:15], -0.5, v[6:7]
	v_add_f64 v[6:7], v[6:7], v[78:79]
	s_delay_alu instid0(VALU_DEP_4) | instskip(NEXT) | instid1(VALU_DEP_4)
	v_fma_f64 v[24:25], v[22:23], s[2:3], v[24:25]
	v_fma_f64 v[16:17], v[22:23], s[10:11], v[16:17]
	s_delay_alu instid0(VALU_DEP_3) | instskip(NEXT) | instid1(VALU_DEP_3)
	v_add_f64 v[6:7], v[6:7], v[162:163]
	v_fma_f64 v[152:153], v[12:13], s[16:17], v[24:25]
	s_delay_alu instid0(VALU_DEP_3) | instskip(SKIP_4) | instid1(VALU_DEP_4)
	v_fma_f64 v[156:157], v[12:13], s[16:17], v[16:17]
	v_add_f64 v[12:13], v[160:161], v[168:169]
	v_add_f64 v[16:17], v[76:77], -v[160:161]
	v_add_f64 v[6:7], v[6:7], v[194:195]
	v_add_f64 v[24:25], v[170:171], -v[168:169]
	v_fma_f64 v[12:13], v[12:13], -0.5, v[4:5]
	v_add_f64 v[4:5], v[4:5], v[76:77]
	s_delay_alu instid0(VALU_DEP_3) | instskip(NEXT) | instid1(VALU_DEP_2)
	v_add_f64 v[16:17], v[16:17], v[24:25]
	v_add_f64 v[4:5], v[4:5], v[160:161]
	s_delay_alu instid0(VALU_DEP_1) | instskip(NEXT) | instid1(VALU_DEP_1)
	v_add_f64 v[4:5], v[4:5], v[168:169]
	v_add_f64 v[168:169], v[4:5], v[170:171]
	v_add_f64 v[170:171], v[6:7], v[164:165]
	v_add_f64 v[4:5], v[164:165], -v[194:195]
	v_fma_f64 v[6:7], v[22:23], s[12:13], v[12:13]
	v_fma_f64 v[12:13], v[22:23], s[14:15], v[12:13]
	;; [unrolled: 1-line block ×4, first 2 shown]
	v_add_f64 v[4:5], v[18:19], v[4:5]
	v_fma_f64 v[6:7], v[20:21], s[2:3], v[6:7]
	v_fma_f64 v[12:13], v[20:21], s[10:11], v[12:13]
	;; [unrolled: 1-line block ×4, first 2 shown]
	s_delay_alu instid0(VALU_DEP_4) | instskip(NEXT) | instid1(VALU_DEP_4)
	v_fma_f64 v[160:161], v[16:17], s[16:17], v[6:7]
	v_fma_f64 v[164:165], v[16:17], s[16:17], v[12:13]
	s_delay_alu instid0(VALU_DEP_4) | instskip(NEXT) | instid1(VALU_DEP_4)
	v_fma_f64 v[162:163], v[4:5], s[16:17], v[18:19]
	v_fma_f64 v[166:167], v[4:5], s[16:17], v[14:15]
	ds_store_b128 v192, v[0:3]
	ds_store_b128 v192, v[8:11] offset:1440
	ds_store_b128 v192, v[220:223] offset:2880
	;; [unrolled: 1-line block ×24, first 2 shown]
	s_waitcnt lgkmcnt(0)
	s_waitcnt_vscnt null, 0x0
	s_barrier
	buffer_gl0_inv
	s_clause 0x1
	scratch_load_b64 v[0:1], off, off offset:12
	scratch_load_b64 v[44:45], off, off offset:4
	ds_load_b128 v[182:185], v192 offset:3600
	ds_load_b128 v[200:203], v192 offset:1440
	;; [unrolled: 1-line block ×5, first 2 shown]
	s_waitcnt vmcnt(1)
	global_load_b128 v[172:175], v[0:1], off offset:3232
	s_waitcnt vmcnt(1)
	v_add_co_u32 v4, s1, 0x11000, v44
	s_delay_alu instid0(VALU_DEP_1)
	v_add_co_ci_u32_e64 v5, s1, 0, v45, s1
	global_load_b128 v[4:7], v[4:5], off offset:208
	ds_load_b128 v[0:3], v192
	s_waitcnt vmcnt(1) lgkmcnt(0)
	v_mul_f64 v[12:13], v[2:3], v[174:175]
	v_mul_f64 v[14:15], v[0:1], v[174:175]
	s_delay_alu instid0(VALU_DEP_2) | instskip(SKIP_1) | instid1(VALU_DEP_1)
	v_fma_f64 v[174:175], v[0:1], v[172:173], -v[12:13]
	v_add_co_u32 v0, s1, 0x8ca0, v44
	v_add_co_ci_u32_e64 v1, s1, 0, v45, s1
	s_delay_alu instid0(VALU_DEP_4)
	v_fma_f64 v[176:177], v[2:3], v[172:173], v[14:15]
	s_clause 0x1
	global_load_b128 v[178:181], v[0:1], off offset:3600
	global_load_b128 v[186:189], v[0:1], off offset:1440
	s_waitcnt vmcnt(1)
	v_mul_f64 v[2:3], v[184:185], v[180:181]
	v_mul_f64 v[12:13], v[182:183], v[180:181]
	s_delay_alu instid0(VALU_DEP_2) | instskip(SKIP_1) | instid1(VALU_DEP_1)
	v_fma_f64 v[180:181], v[182:183], v[178:179], -v[2:3]
	v_add_co_u32 v2, s1, 0xa000, v44
	v_add_co_ci_u32_e64 v3, s1, 0, v45, s1
	s_delay_alu instid0(VALU_DEP_4)
	v_fma_f64 v[182:183], v[184:185], v[178:179], v[12:13]
	s_clause 0x1
	global_load_b128 v[204:207], v[2:3], off offset:2240
	global_load_b128 v[212:215], v[2:3], off offset:80
	s_waitcnt vmcnt(1)
	v_mul_f64 v[12:13], v[210:211], v[206:207]
	v_mul_f64 v[14:15], v[208:209], v[206:207]
	s_delay_alu instid0(VALU_DEP_2) | instskip(SKIP_1) | instid1(VALU_DEP_1)
	v_fma_f64 v[206:207], v[208:209], v[204:205], -v[12:13]
	v_add_co_u32 v12, s1, 0xb000, v44
	v_add_co_ci_u32_e64 v13, s1, 0, v45, s1
	s_clause 0x1
	global_load_b128 v[220:223], v[2:3], off offset:3680
	global_load_b128 v[224:227], v[12:13], off offset:1744
	ds_load_b128 v[228:231], v192 offset:10800
	ds_load_b128 v[232:235], v192 offset:8640
	v_fma_f64 v[208:209], v[210:211], v[204:205], v[14:15]
	s_waitcnt vmcnt(0) lgkmcnt(1)
	v_mul_f64 v[2:3], v[230:231], v[226:227]
	v_mul_f64 v[14:15], v[228:229], v[226:227]
	s_delay_alu instid0(VALU_DEP_2) | instskip(SKIP_1) | instid1(VALU_DEP_1)
	v_fma_f64 v[226:227], v[228:229], v[224:225], -v[2:3]
	v_add_co_u32 v2, s1, 0xc000, v44
	v_add_co_ci_u32_e64 v3, s1, 0, v45, s1
	s_clause 0x1
	global_load_b128 v[236:239], v[12:13], off offset:3184
	global_load_b128 v[240:243], v[2:3], off offset:1248
	ds_load_b128 v[244:247], v192 offset:14400
	ds_load_b128 v[248:251], v192 offset:12240
	v_fma_f64 v[228:229], v[230:231], v[224:225], v[14:15]
	v_add_co_u32 v24, s1, 0xd000, v44
	s_delay_alu instid0(VALU_DEP_1) | instskip(SKIP_3) | instid1(VALU_DEP_2)
	v_add_co_ci_u32_e64 v25, s1, 0, v45, s1
	s_waitcnt vmcnt(0) lgkmcnt(1)
	v_mul_f64 v[12:13], v[246:247], v[242:243]
	v_mul_f64 v[14:15], v[244:245], v[242:243]
	v_fma_f64 v[242:243], v[244:245], v[240:241], -v[12:13]
	s_delay_alu instid0(VALU_DEP_2)
	v_fma_f64 v[244:245], v[246:247], v[240:241], v[14:15]
	s_clause 0x1
	global_load_b128 v[252:255], v[2:3], off offset:2688
	global_load_b128 v[12:15], v[24:25], off offset:752
	ds_load_b128 v[16:19], v192 offset:18000
	ds_load_b128 v[20:23], v192 offset:15840
	s_waitcnt vmcnt(0) lgkmcnt(1)
	v_mul_f64 v[2:3], v[18:19], v[14:15]
	v_mul_f64 v[26:27], v[16:17], v[14:15]
	s_delay_alu instid0(VALU_DEP_2) | instskip(SKIP_1) | instid1(VALU_DEP_1)
	v_fma_f64 v[14:15], v[16:17], v[12:13], -v[2:3]
	v_add_co_u32 v2, s1, 0xe000, v44
	v_add_co_ci_u32_e64 v3, s1, 0, v45, s1
	s_delay_alu instid0(VALU_DEP_4)
	v_fma_f64 v[16:17], v[18:19], v[12:13], v[26:27]
	s_clause 0x1
	global_load_b128 v[24:27], v[24:25], off offset:2192
	global_load_b128 v[28:31], v[2:3], off offset:256
	ds_load_b128 v[32:35], v192 offset:21600
	ds_load_b128 v[36:39], v192 offset:19440
	s_clause 0x1
	global_load_b128 v[40:43], v[2:3], off offset:3856
	global_load_b128 v[48:51], v[2:3], off offset:1696
	ds_load_b128 v[52:55], v192 offset:25200
	ds_load_b128 v[56:59], v192 offset:23040
	s_waitcnt vmcnt(2) lgkmcnt(3)
	v_mul_f64 v[12:13], v[34:35], v[30:31]
	s_waitcnt vmcnt(1) lgkmcnt(1)
	v_mul_f64 v[2:3], v[54:55], v[42:43]
	v_mul_f64 v[18:19], v[32:33], v[30:31]
	s_delay_alu instid0(VALU_DEP_3) | instskip(SKIP_1) | instid1(VALU_DEP_4)
	v_fma_f64 v[30:31], v[32:33], v[28:29], -v[12:13]
	v_mul_f64 v[12:13], v[52:53], v[42:43]
	v_fma_f64 v[52:53], v[52:53], v[40:41], -v[2:3]
	v_add_co_u32 v2, s1, 0xf000, v44
	s_delay_alu instid0(VALU_DEP_1)
	v_add_co_ci_u32_e64 v3, s1, 0, v45, s1
	v_fma_f64 v[32:33], v[34:35], v[28:29], v[18:19]
	v_fma_f64 v[54:55], v[54:55], v[40:41], v[12:13]
	s_clause 0x1
	global_load_b128 v[40:43], v[2:3], off offset:3360
	global_load_b128 v[60:63], v[2:3], off offset:1200
	ds_load_b128 v[64:67], v192 offset:28800
	ds_load_b128 v[68:71], v192 offset:26640
	s_waitcnt vmcnt(1) lgkmcnt(1)
	v_mul_f64 v[2:3], v[66:67], v[42:43]
	v_mul_f64 v[12:13], v[64:65], v[42:43]
	s_delay_alu instid0(VALU_DEP_2) | instskip(SKIP_1) | instid1(VALU_DEP_1)
	v_fma_f64 v[64:65], v[64:65], v[40:41], -v[2:3]
	v_add_co_u32 v2, s1, 0x10000, v44
	v_add_co_ci_u32_e64 v3, s1, 0, v45, s1
	s_delay_alu instid0(VALU_DEP_4)
	v_fma_f64 v[66:67], v[66:67], v[40:41], v[12:13]
	s_clause 0x1
	global_load_b128 v[40:43], v[2:3], off offset:2864
	global_load_b128 v[72:75], v[2:3], off offset:704
	ds_load_b128 v[76:79], v192 offset:32400
	ds_load_b128 v[44:47], v192 offset:30240
	s_waitcnt vmcnt(1) lgkmcnt(1)
	v_mul_f64 v[2:3], v[78:79], v[42:43]
	v_mul_f64 v[12:13], v[76:77], v[42:43]
	s_delay_alu instid0(VALU_DEP_2) | instskip(SKIP_1) | instid1(VALU_DEP_3)
	v_fma_f64 v[76:77], v[76:77], v[40:41], -v[2:3]
	v_mul_f64 v[2:3], v[202:203], v[188:189]
	v_fma_f64 v[78:79], v[78:79], v[40:41], v[12:13]
	v_mul_f64 v[12:13], v[200:201], v[188:189]
	s_delay_alu instid0(VALU_DEP_3) | instskip(SKIP_1) | instid1(VALU_DEP_3)
	v_fma_f64 v[40:41], v[200:201], v[186:187], -v[2:3]
	v_mul_f64 v[2:3], v[218:219], v[214:215]
	v_fma_f64 v[42:43], v[202:203], v[186:187], v[12:13]
	v_mul_f64 v[12:13], v[216:217], v[214:215]
	s_delay_alu instid0(VALU_DEP_3) | instskip(SKIP_1) | instid1(VALU_DEP_3)
	;; [unrolled: 5-line block ×7, first 2 shown]
	v_fma_f64 v[26:27], v[56:57], v[48:49], -v[2:3]
	v_mul_f64 v[2:3], v[70:71], v[62:63]
	v_fma_f64 v[28:29], v[58:59], v[48:49], v[12:13]
	v_mul_f64 v[12:13], v[68:69], v[62:63]
	s_delay_alu instid0(VALU_DEP_3) | instskip(SKIP_2) | instid1(VALU_DEP_3)
	v_fma_f64 v[34:35], v[68:69], v[60:61], -v[2:3]
	s_waitcnt vmcnt(0) lgkmcnt(0)
	v_mul_f64 v[2:3], v[46:47], v[74:75]
	v_fma_f64 v[36:37], v[70:71], v[60:61], v[12:13]
	v_mul_f64 v[12:13], v[44:45], v[74:75]
	s_delay_alu instid0(VALU_DEP_3) | instskip(SKIP_2) | instid1(VALU_DEP_4)
	v_fma_f64 v[44:45], v[44:45], v[72:73], -v[2:3]
	v_mul_f64 v[2:3], v[10:11], v[6:7]
	v_mul_f64 v[6:7], v[8:9], v[6:7]
	v_fma_f64 v[46:47], v[46:47], v[72:73], v[12:13]
	s_delay_alu instid0(VALU_DEP_3) | instskip(NEXT) | instid1(VALU_DEP_3)
	v_fma_f64 v[2:3], v[8:9], v[4:5], -v[2:3]
	v_fma_f64 v[4:5], v[10:11], v[4:5], v[6:7]
	ds_store_b128 v192, v[180:183] offset:3600
	ds_store_b128 v192, v[40:43] offset:1440
	;; [unrolled: 1-line block ×18, first 2 shown]
	ds_store_b128 v192, v[174:177]
	ds_store_b128 v192, v[2:5] offset:33840
	s_and_saveexec_b32 s2, vcc_lo
	s_cbranch_execz .LBB0_17
; %bb.16:
	v_add_co_u32 v6, s1, 0x1000, v0
	s_delay_alu instid0(VALU_DEP_1)
	v_add_co_ci_u32_e64 v7, s1, 0, v1, s1
	v_add_co_u32 v10, s1, 0x2000, v0
	s_clause 0x1
	global_load_b128 v[2:5], v[0:1], off offset:2880
	global_load_b128 v[6:9], v[6:7], off offset:2384
	v_add_co_ci_u32_e64 v11, s1, 0, v1, s1
	v_add_co_u32 v14, s1, 0x3000, v0
	s_delay_alu instid0(VALU_DEP_1) | instskip(SKIP_1) | instid1(VALU_DEP_1)
	v_add_co_ci_u32_e64 v15, s1, 0, v1, s1
	v_add_co_u32 v18, s1, 0x4000, v0
	v_add_co_ci_u32_e64 v19, s1, 0, v1, s1
	v_add_co_u32 v26, s1, 0x5000, v0
	s_delay_alu instid0(VALU_DEP_1) | instskip(SKIP_1) | instid1(VALU_DEP_1)
	v_add_co_ci_u32_e64 v27, s1, 0, v1, s1
	v_add_co_u32 v30, s1, 0x6000, v0
	v_add_co_ci_u32_e64 v31, s1, 0, v1, s1
	v_add_co_u32 v34, s1, 0x7000, v0
	s_delay_alu instid0(VALU_DEP_1)
	v_add_co_ci_u32_e64 v35, s1, 0, v1, s1
	s_clause 0x1
	global_load_b128 v[10:13], v[10:11], off offset:1888
	global_load_b128 v[14:17], v[14:15], off offset:1392
	v_add_co_u32 v0, s1, 0x8000, v0
	s_clause 0x1
	global_load_b128 v[18:21], v[18:19], off offset:896
	global_load_b128 v[22:25], v[26:27], off offset:400
	v_add_co_ci_u32_e64 v1, s1, 0, v1, s1
	s_clause 0x3
	global_load_b128 v[26:29], v[26:27], off offset:4000
	global_load_b128 v[30:33], v[30:31], off offset:3504
	;; [unrolled: 1-line block ×4, first 2 shown]
	ds_load_b128 v[42:45], v192 offset:2880
	ds_load_b128 v[46:49], v192 offset:35280
	;; [unrolled: 1-line block ×10, first 2 shown]
	s_waitcnt vmcnt(9) lgkmcnt(9)
	v_mul_f64 v[0:1], v[44:45], v[4:5]
	v_mul_f64 v[4:5], v[42:43], v[4:5]
	s_waitcnt vmcnt(8) lgkmcnt(7)
	v_mul_f64 v[78:79], v[52:53], v[8:9]
	v_mul_f64 v[8:9], v[50:51], v[8:9]
	;; [unrolled: 3-line block ×8, first 2 shown]
	v_fma_f64 v[0:1], v[42:43], v[2:3], -v[0:1]
	s_waitcnt vmcnt(1) lgkmcnt(0)
	v_mul_f64 v[42:43], v[174:175], v[36:37]
	v_mul_f64 v[36:37], v[172:173], v[36:37]
	v_fma_f64 v[2:3], v[44:45], v[2:3], v[4:5]
	s_waitcnt vmcnt(0)
	v_mul_f64 v[44:45], v[48:49], v[40:41]
	v_mul_f64 v[40:41], v[46:47], v[40:41]
	v_fma_f64 v[4:5], v[50:51], v[6:7], -v[78:79]
	v_fma_f64 v[6:7], v[52:53], v[6:7], v[8:9]
	v_fma_f64 v[8:9], v[54:55], v[10:11], -v[176:177]
	v_fma_f64 v[10:11], v[56:57], v[10:11], v[12:13]
	;; [unrolled: 2-line block ×9, first 2 shown]
	ds_store_b128 v192, v[4:7] offset:6480
	ds_store_b128 v192, v[8:11] offset:10080
	;; [unrolled: 1-line block ×10, first 2 shown]
.LBB0_17:
	s_or_b32 exec_lo, exec_lo, s2
	s_waitcnt lgkmcnt(0)
	s_barrier
	buffer_gl0_inv
	ds_load_b128 v[220:223], v192 offset:3600
	ds_load_b128 v[216:219], v192 offset:1440
	;; [unrolled: 1-line block ×18, first 2 shown]
	ds_load_b128 v[0:3], v192
	ds_load_b128 v[184:187], v192 offset:33840
	s_and_saveexec_b32 s1, vcc_lo
	s_cbranch_execz .LBB0_19
; %bb.18:
	ds_load_b128 v[160:163], v192 offset:6480
	ds_load_b128 v[152:155], v192 offset:10080
	;; [unrolled: 1-line block ×10, first 2 shown]
.LBB0_19:
	s_or_b32 exec_lo, exec_lo, s1
	s_waitcnt lgkmcnt(1)
	v_add_f64 v[12:13], v[2:3], v[250:251]
	v_add_f64 v[6:7], v[250:251], v[242:243]
	v_add_f64 v[56:57], v[236:237], -v[224:225]
	v_add_f64 v[60:61], v[228:229], -v[224:225]
	v_add_f64 v[62:63], v[224:225], -v[228:229]
	v_add_f64 v[46:47], v[232:233], -v[228:229]
	v_add_f64 v[44:45], v[234:235], -v[230:231]
	v_add_f64 v[64:65], v[230:231], -v[226:227]
	v_add_f64 v[66:67], v[226:227], -v[230:231]
	v_add_f64 v[48:49], v[232:233], -v[236:237]
	v_add_f64 v[50:51], v[236:237], -v[232:233]
	v_add_f64 v[4:5], v[252:253], v[244:245]
	v_add_f64 v[52:53], v[234:235], -v[238:239]
	v_add_f64 v[54:55], v[238:239], -v[234:235]
	;; [unrolled: 1-line block ×4, first 2 shown]
	s_mov_b32 s12, 0x134454ff
	s_mov_b32 s13, 0xbfee6f0e
	s_mov_b32 s11, 0x3fee6f0e
	s_mov_b32 s10, s12
	v_add_f64 v[22:23], v[250:251], -v[254:255]
	v_add_f64 v[26:27], v[242:243], -v[246:247]
	s_mov_b32 s14, 0x4755a5e
	s_mov_b32 s15, 0xbfe2cf23
	s_mov_b32 s17, 0x3fe2cf23
	s_mov_b32 s16, s14
	v_add_f64 v[32:33], v[244:245], -v[240:241]
	v_add_f64 v[58:59], v[238:239], -v[226:227]
	;; [unrolled: 6-line block ×3, first 2 shown]
	v_add_f64 v[34:35], v[246:247], -v[242:243]
	s_waitcnt lgkmcnt(0)
	s_barrier
	buffer_gl0_inv
	v_add_f64 v[12:13], v[12:13], v[254:255]
	v_fma_f64 v[10:11], v[6:7], -0.5, v[2:3]
	v_add_f64 v[6:7], v[0:1], v[248:249]
	s_mov_b32 s19, 0xbfd3c6ef
	s_mov_b32 s18, s2
	;; [unrolled: 1-line block ×4, first 2 shown]
	v_add_f64 v[48:49], v[48:49], v[60:61]
	v_add_f64 v[50:51], v[50:51], v[62:63]
	v_fma_f64 v[194:195], v[4:5], -0.5, v[0:1]
	v_add_f64 v[4:5], v[248:249], v[240:241]
	v_add_f64 v[52:53], v[52:53], v[64:65]
	;; [unrolled: 1-line block ×7, first 2 shown]
	v_add_f64 v[6:7], v[254:255], -v[246:247]
	v_fma_f64 v[8:9], v[4:5], -0.5, v[0:1]
	v_add_f64 v[4:5], v[254:255], v[246:247]
	v_add_f64 v[0:1], v[250:251], -v[242:243]
	v_add_f64 v[18:19], v[12:13], v[242:243]
	v_add_f64 v[12:13], v[238:239], v[226:227]
	;; [unrolled: 1-line block ×3, first 2 shown]
	v_add_f64 v[242:243], v[186:187], -v[174:175]
	v_fma_f64 v[4:5], v[4:5], -0.5, v[2:3]
	v_add_f64 v[2:3], v[248:249], -v[240:241]
	v_add_f64 v[248:249], v[252:253], -v[244:245]
	v_fma_f64 v[40:41], v[12:13], -0.5, v[222:223]
	v_add_f64 v[12:13], v[234:235], v[230:231]
	v_add_f64 v[16:17], v[14:15], v[240:241]
	;; [unrolled: 1-line block ×3, first 2 shown]
	v_add_f64 v[240:241], v[184:185], -v[172:173]
	v_fma_f64 v[20:21], v[46:47], s[10:11], v[40:41]
	v_fma_f64 v[36:37], v[12:13], -0.5, v[222:223]
	v_add_f64 v[12:13], v[232:233], v[228:229]
	v_add_f64 v[14:15], v[14:15], v[238:239]
	v_add_f64 v[222:223], v[210:211], -v[214:215]
	v_fma_f64 v[40:41], v[46:47], s[12:13], v[40:41]
	v_add_f64 v[238:239], v[178:179], -v[182:183]
	v_fma_f64 v[20:21], v[56:57], s[16:17], v[20:21]
	v_fma_f64 v[38:39], v[12:13], -0.5, v[220:221]
	v_add_f64 v[12:13], v[236:237], v[224:225]
	v_add_f64 v[14:15], v[14:15], v[226:227]
	v_add_f64 v[226:227], v[202:203], -v[206:207]
	v_fma_f64 v[20:21], v[52:53], s[2:3], v[20:21]
	v_fma_f64 v[30:31], v[58:59], s[10:11], v[38:39]
	v_fma_f64 v[42:43], v[12:13], -0.5, v[220:221]
	v_add_f64 v[12:13], v[220:221], v[232:233]
	v_add_f64 v[70:71], v[14:15], v[230:231]
	;; [unrolled: 1-line block ×3, first 2 shown]
	v_add_f64 v[220:221], v[212:213], -v[208:209]
	v_fma_f64 v[38:39], v[58:59], s[12:13], v[38:39]
	v_mul_f64 v[24:25], v[20:21], s[14:15]
	v_fma_f64 v[30:31], v[44:45], s[14:15], v[30:31]
	v_add_f64 v[12:13], v[12:13], v[236:237]
	v_add_f64 v[236:237], v[180:181], -v[176:177]
	v_add_f64 v[14:15], v[14:15], v[214:215]
	v_fma_f64 v[38:39], v[44:45], s[16:17], v[38:39]
	v_fma_f64 v[30:31], v[50:51], s[2:3], v[30:31]
	v_add_f64 v[12:13], v[12:13], v[224:225]
	v_add_f64 v[224:225], v[200:201], -v[204:205]
	v_add_f64 v[14:15], v[14:15], v[206:207]
	v_fma_f64 v[38:39], v[50:51], s[2:3], v[38:39]
	s_delay_alu instid0(VALU_DEP_4) | instskip(SKIP_1) | instid1(VALU_DEP_1)
	v_add_f64 v[68:69], v[12:13], v[228:229]
	v_add_f64 v[12:13], v[212:213], v[204:205]
	v_fma_f64 v[72:73], v[12:13], -0.5, v[216:217]
	v_add_f64 v[12:13], v[208:209], v[200:201]
	s_delay_alu instid0(VALU_DEP_1) | instskip(SKIP_1) | instid1(VALU_DEP_1)
	v_fma_f64 v[74:75], v[12:13], -0.5, v[216:217]
	v_add_f64 v[12:13], v[214:215], v[206:207]
	v_fma_f64 v[76:77], v[12:13], -0.5, v[218:219]
	v_add_f64 v[12:13], v[210:211], v[202:203]
	s_delay_alu instid0(VALU_DEP_1)
	v_fma_f64 v[78:79], v[12:13], -0.5, v[218:219]
	v_add_f64 v[12:13], v[216:217], v[208:209]
	v_add_f64 v[218:219], v[208:209], -v[212:213]
	v_add_f64 v[208:209], v[208:209], -v[200:201]
	;; [unrolled: 1-line block ×6, first 2 shown]
	v_add_f64 v[202:203], v[14:15], v[202:203]
	v_add_f64 v[14:15], v[190:191], v[178:179]
	;; [unrolled: 1-line block ×3, first 2 shown]
	v_add_f64 v[212:213], v[212:213], -v[204:205]
	s_delay_alu instid0(VALU_DEP_3) | instskip(NEXT) | instid1(VALU_DEP_3)
	v_add_f64 v[14:15], v[14:15], v[182:183]
	v_add_f64 v[12:13], v[12:13], v[204:205]
	v_add_f64 v[204:205], v[204:205], -v[200:201]
	s_delay_alu instid0(VALU_DEP_3) | instskip(NEXT) | instid1(VALU_DEP_3)
	v_add_f64 v[14:15], v[14:15], v[174:175]
	v_add_f64 v[200:201], v[12:13], v[200:201]
	;; [unrolled: 1-line block ×3, first 2 shown]
	s_delay_alu instid0(VALU_DEP_1) | instskip(SKIP_1) | instid1(VALU_DEP_1)
	v_fma_f64 v[228:229], v[12:13], -0.5, v[188:189]
	v_add_f64 v[12:13], v[182:183], v[174:175]
	v_fma_f64 v[230:231], v[12:13], -0.5, v[190:191]
	v_add_f64 v[12:13], v[178:179], v[186:187]
	s_delay_alu instid0(VALU_DEP_1) | instskip(SKIP_2) | instid1(VALU_DEP_2)
	v_fma_f64 v[232:233], v[12:13], -0.5, v[190:191]
	v_add_f64 v[12:13], v[176:177], v[184:185]
	v_add_f64 v[190:191], v[176:177], -v[180:181]
	v_fma_f64 v[234:235], v[12:13], -0.5, v[188:189]
	v_add_f64 v[12:13], v[188:189], v[176:177]
	v_add_f64 v[176:177], v[176:177], -v[184:185]
	v_add_f64 v[188:189], v[178:179], -v[186:187]
	;; [unrolled: 1-line block ×5, first 2 shown]
	v_add_f64 v[186:187], v[14:15], v[186:187]
	v_add_f64 v[14:15], v[18:19], v[70:71]
	v_add_f64 v[18:19], v[18:19], -v[70:71]
	v_add_f64 v[12:13], v[12:13], v[180:181]
	v_add_f64 v[180:181], v[180:181], -v[172:173]
	s_delay_alu instid0(VALU_DEP_2) | instskip(SKIP_1) | instid1(VALU_DEP_2)
	v_add_f64 v[12:13], v[12:13], v[172:173]
	v_add_f64 v[172:173], v[172:173], -v[184:185]
	v_add_f64 v[184:185], v[12:13], v[184:185]
	v_add_f64 v[12:13], v[16:17], v[68:69]
	v_add_f64 v[16:17], v[16:17], -v[68:69]
	v_add_f64 v[68:69], v[22:23], v[26:27]
	v_fma_f64 v[22:23], v[44:45], s[12:13], v[42:43]
	v_fma_f64 v[42:43], v[44:45], s[10:11], v[42:43]
	;; [unrolled: 1-line block ×3, first 2 shown]
	s_delay_alu instid0(VALU_DEP_3) | instskip(NEXT) | instid1(VALU_DEP_2)
	v_fma_f64 v[22:23], v[58:59], s[14:15], v[22:23]
	v_fma_f64 v[44:45], v[180:181], s[16:17], v[44:45]
	s_delay_alu instid0(VALU_DEP_2) | instskip(NEXT) | instid1(VALU_DEP_1)
	v_fma_f64 v[22:23], v[48:49], s[2:3], v[22:23]
	v_fma_f64 v[24:25], v[22:23], s[20:21], v[24:25]
	v_mul_f64 v[22:23], v[22:23], s[16:17]
	s_delay_alu instid0(VALU_DEP_1) | instskip(SKIP_2) | instid1(VALU_DEP_2)
	v_fma_f64 v[26:27], v[20:21], s[20:21], v[22:23]
	v_fma_f64 v[20:21], v[0:1], s[12:13], v[194:195]
	;; [unrolled: 1-line block ×4, first 2 shown]
	s_delay_alu instid0(VALU_DEP_2) | instskip(NEXT) | instid1(VALU_DEP_2)
	v_fma_f64 v[22:23], v[248:249], s[16:17], v[22:23]
	v_fma_f64 v[60:61], v[64:65], s[2:3], v[20:21]
	s_delay_alu instid0(VALU_DEP_2) | instskip(NEXT) | instid1(VALU_DEP_2)
	v_fma_f64 v[70:71], v[68:69], s[2:3], v[22:23]
	v_add_f64 v[20:21], v[60:61], v[24:25]
	v_add_f64 v[24:25], v[60:61], -v[24:25]
	v_add_f64 v[60:61], v[28:29], v[32:33]
	v_fma_f64 v[28:29], v[56:57], s[12:13], v[36:37]
	v_fma_f64 v[36:37], v[56:57], s[10:11], v[36:37]
	v_add_f64 v[22:23], v[70:71], v[26:27]
	v_add_f64 v[26:27], v[70:71], -v[26:27]
	s_delay_alu instid0(VALU_DEP_4) | instskip(NEXT) | instid1(VALU_DEP_4)
	v_fma_f64 v[28:29], v[46:47], s[16:17], v[28:29]
	v_fma_f64 v[36:37], v[46:47], s[14:15], v[36:37]
	;; [unrolled: 1-line block ×3, first 2 shown]
	s_delay_alu instid0(VALU_DEP_3) | instskip(NEXT) | instid1(VALU_DEP_3)
	v_fma_f64 v[28:29], v[54:55], s[2:3], v[28:29]
	v_fma_f64 v[36:37], v[54:55], s[2:3], v[36:37]
	s_delay_alu instid0(VALU_DEP_3) | instskip(NEXT) | instid1(VALU_DEP_3)
	v_fma_f64 v[46:47], v[180:181], s[14:15], v[46:47]
	v_mul_f64 v[32:33], v[28:29], s[12:13]
	v_mul_f64 v[28:29], v[28:29], s[2:3]
	s_delay_alu instid0(VALU_DEP_2) | instskip(NEXT) | instid1(VALU_DEP_2)
	v_fma_f64 v[32:33], v[30:31], s[2:3], v[32:33]
	v_fma_f64 v[34:35], v[30:31], s[10:11], v[28:29]
	;; [unrolled: 1-line block ×5, first 2 shown]
	s_delay_alu instid0(VALU_DEP_3) | instskip(NEXT) | instid1(VALU_DEP_3)
	v_fma_f64 v[28:29], v[0:1], s[14:15], v[28:29]
	v_fma_f64 v[8:9], v[0:1], s[16:17], v[8:9]
	;; [unrolled: 1-line block ×3, first 2 shown]
	scratch_load_b32 v194, off, off offset:484 ; 4-byte Folded Reload
	v_fma_f64 v[30:31], v[2:3], s[16:17], v[30:31]
	v_fma_f64 v[66:67], v[60:61], s[2:3], v[28:29]
	;; [unrolled: 1-line block ×4, first 2 shown]
	v_mul_f64 v[10:11], v[36:37], s[18:19]
	v_fma_f64 v[0:1], v[6:7], s[16:17], v[0:1]
	v_fma_f64 v[70:71], v[62:63], s[2:3], v[30:31]
	;; [unrolled: 1-line block ×3, first 2 shown]
	v_add_f64 v[28:29], v[66:67], v[32:33]
	v_add_f64 v[32:33], v[66:67], -v[32:33]
	v_fma_f64 v[8:9], v[2:3], s[14:15], v[8:9]
	v_fma_f64 v[2:3], v[2:3], s[12:13], v[4:5]
	;; [unrolled: 1-line block ×4, first 2 shown]
	v_add_f64 v[30:31], v[70:71], v[34:35]
	v_fma_f64 v[0:1], v[64:65], s[2:3], v[0:1]
	v_fma_f64 v[56:57], v[214:215], s[10:11], v[74:75]
	;; [unrolled: 1-line block ×4, first 2 shown]
	v_add_f64 v[34:35], v[70:71], -v[34:35]
	v_fma_f64 v[64:65], v[182:183], s[10:11], v[234:235]
	v_fma_f64 v[66:67], v[182:183], s[12:13], v[234:235]
	;; [unrolled: 1-line block ×4, first 2 shown]
	s_waitcnt vmcnt(0)
	ds_store_b128 v194, v[12:15]
	ds_store_b128 v194, v[20:23] offset:16
	ds_store_b128 v194, v[28:31] offset:32
	v_fma_f64 v[2:3], v[248:249], s[14:15], v[2:3]
	v_fma_f64 v[4:5], v[52:53], s[2:3], v[4:5]
	;; [unrolled: 1-line block ×3, first 2 shown]
	v_mul_f64 v[8:9], v[36:37], s[12:13]
	v_fma_f64 v[6:7], v[48:49], s[2:3], v[40:41]
	v_add_f64 v[14:15], v[238:239], v[242:243]
	v_fma_f64 v[48:49], v[180:181], s[12:13], v[232:233]
	v_fma_f64 v[52:53], v[216:217], s[12:13], v[72:73]
	v_add_f64 v[20:21], v[178:179], v[174:175]
	v_add_f64 v[22:23], v[220:221], v[204:205]
	v_fma_f64 v[62:63], v[188:189], s[10:11], v[228:229]
	v_fma_f64 v[56:57], v[216:217], s[14:15], v[56:57]
	;; [unrolled: 1-line block ×3, first 2 shown]
	v_add_f64 v[12:13], v[236:237], v[172:173]
	v_add_f64 v[28:29], v[222:223], v[226:227]
	;; [unrolled: 1-line block ×3, first 2 shown]
	v_fma_f64 v[64:65], v[188:189], s[14:15], v[64:65]
	v_fma_f64 v[66:67], v[188:189], s[16:17], v[66:67]
	;; [unrolled: 1-line block ×4, first 2 shown]
	v_add_f64 v[172:173], v[86:87], -v[106:107]
	v_add_f64 v[178:179], v[156:157], -v[148:149]
	v_fma_f64 v[42:43], v[68:69], s[2:3], v[2:3]
	v_mul_f64 v[2:3], v[4:5], s[14:15]
	v_mul_f64 v[4:5], v[4:5], s[22:23]
	v_fma_f64 v[36:37], v[38:39], s[18:19], v[8:9]
	v_fma_f64 v[38:39], v[38:39], s[10:11], v[10:11]
	;; [unrolled: 1-line block ×10, first 2 shown]
	v_add_f64 v[76:77], v[166:167], v[146:147]
	v_fma_f64 v[40:41], v[6:7], s[22:23], v[2:3]
	v_fma_f64 v[6:7], v[6:7], s[16:17], v[4:5]
	v_add_f64 v[8:9], v[50:51], v[36:37]
	v_add_f64 v[10:11], v[54:55], v[38:39]
	v_add_f64 v[36:37], v[50:51], -v[36:37]
	v_add_f64 v[38:39], v[54:55], -v[38:39]
	v_fma_f64 v[50:51], v[180:181], s[10:11], v[232:233]
	v_fma_f64 v[54:55], v[216:217], s[10:11], v[72:73]
	;; [unrolled: 1-line block ×5, first 2 shown]
	v_add_f64 v[78:79], v[158:159], -v[150:151]
	v_add_f64 v[180:181], v[84:85], -v[104:105]
	v_add_f64 v[2:3], v[0:1], v[40:41]
	v_add_f64 v[4:5], v[42:43], v[6:7]
	v_add_f64 v[42:43], v[42:43], -v[6:7]
	v_add_f64 v[6:7], v[190:191], v[240:241]
	v_add_f64 v[40:41], v[0:1], -v[40:41]
	v_add_f64 v[0:1], v[218:219], v[224:225]
	v_fma_f64 v[50:51], v[176:177], s[14:15], v[50:51]
	v_fma_f64 v[54:55], v[214:215], s[16:17], v[54:55]
	v_fma_f64 v[72:73], v[208:209], s[16:17], v[72:73]
	ds_store_b128 v194, v[8:11] offset:48
	v_add_f64 v[8:9], v[164:165], v[144:145]
	ds_store_b128 v194, v[16:19] offset:80
	ds_store_b128 v194, v[2:5] offset:64
	;; [unrolled: 1-line block ×4, first 2 shown]
	v_add_f64 v[10:11], v[200:201], v[184:185]
	v_fma_f64 v[46:47], v[6:7], s[2:3], v[60:61]
	v_fma_f64 v[6:7], v[6:7], s[2:3], v[62:63]
	;; [unrolled: 1-line block ×5, first 2 shown]
	v_mul_f64 v[0:1], v[44:45], s[14:15]
	v_fma_f64 v[50:51], v[12:13], s[2:3], v[64:65]
	v_fma_f64 v[12:13], v[12:13], s[2:3], v[66:67]
	;; [unrolled: 1-line block ×6, first 2 shown]
	v_mul_f64 v[28:29], v[48:49], s[12:13]
	v_mul_f64 v[48:49], v[48:49], s[2:3]
	ds_store_b128 v194, v[36:39] offset:128
	ds_store_b128 v194, v[40:43] offset:144
	v_add_f64 v[4:5], v[154:155], -v[110:111]
	v_add_f64 v[2:3], v[158:159], -v[86:87]
	;; [unrolled: 1-line block ×6, first 2 shown]
	v_mul_f64 v[22:23], v[46:47], s[16:17]
	v_fma_f64 v[46:47], v[46:47], s[20:21], v[0:1]
	v_mul_f64 v[0:1], v[20:21], s[12:13]
	v_mul_f64 v[20:21], v[20:21], s[18:19]
	v_fma_f64 v[66:67], v[50:51], s[2:3], v[28:29]
	v_fma_f64 v[48:49], v[50:51], s[10:11], v[48:49]
	v_add_f64 v[28:29], v[150:151], v[106:107]
	v_fma_f64 v[44:45], v[44:45], s[20:21], v[22:23]
	v_mul_f64 v[22:23], v[14:15], s[14:15]
	v_mul_f64 v[14:15], v[14:15], s[22:23]
	v_add_f64 v[18:19], v[52:53], v[46:47]
	v_fma_f64 v[50:51], v[12:13], s[18:19], v[0:1]
	v_fma_f64 v[68:69], v[12:13], s[10:11], v[20:21]
	v_add_f64 v[12:13], v[148:149], v[104:105]
	v_add_f64 v[0:1], v[156:157], -v[84:85]
	v_add_f64 v[26:27], v[56:57], v[66:67]
	v_add_f64 v[32:33], v[60:61], -v[48:49]
	v_fma_f64 v[74:75], v[28:29], -0.5, v[162:163]
	v_add_f64 v[28:29], v[60:61], v[48:49]
	v_add_f64 v[60:61], v[78:79], v[172:173]
	v_add_f64 v[20:21], v[30:31], v[44:45]
	v_fma_f64 v[70:71], v[6:7], s[22:23], v[22:23]
	v_add_f64 v[22:23], v[52:53], -v[46:47]
	v_add_f64 v[24:25], v[30:31], -v[44:45]
	;; [unrolled: 1-line block ×4, first 2 shown]
	v_add_f64 v[34:35], v[58:59], v[50:51]
	v_add_f64 v[38:39], v[58:59], -v[50:51]
	v_fma_f64 v[174:175], v[12:13], -0.5, v[160:161]
	v_add_f64 v[12:13], v[202:203], v[186:187]
	v_add_f64 v[50:51], v[152:153], -v[164:165]
	v_fma_f64 v[56:57], v[76:77], -0.5, v[170:171]
	v_fma_f64 v[72:73], v[6:7], s[16:17], v[14:15]
	v_add_f64 v[6:7], v[148:149], -v[104:105]
	v_fma_f64 v[58:59], v[0:1], s[10:11], v[74:75]
	ds_store_b128 v193, v[10:13]
	ds_store_b128 v193, v[18:21] offset:16
	v_add_f64 v[42:43], v[54:55], v[70:71]
	v_add_f64 v[46:47], v[54:55], -v[70:71]
	v_fma_f64 v[54:55], v[8:9], -0.5, v[168:169]
	v_add_f64 v[8:9], v[152:153], -v[108:109]
	v_add_f64 v[10:11], v[154:155], -v[166:167]
	;; [unrolled: 1-line block ×3, first 2 shown]
	v_add_f64 v[18:19], v[50:51], v[52:53]
	v_fma_f64 v[176:177], v[0:1], s[12:13], v[74:75]
	v_add_f64 v[36:37], v[62:63], v[68:69]
	v_add_f64 v[40:41], v[62:63], -v[68:69]
	v_fma_f64 v[62:63], v[2:3], s[12:13], v[174:175]
	v_add_f64 v[14:15], v[200:201], -v[184:185]
	v_add_f64 v[44:45], v[64:65], v[72:73]
	v_add_f64 v[48:49], v[64:65], -v[72:73]
	v_fma_f64 v[64:65], v[2:3], s[10:11], v[174:175]
	v_add_f64 v[68:69], v[178:179], v[180:181]
	ds_store_b128 v193, v[26:29] offset:32
	ds_store_b128 v193, v[34:37] offset:48
	v_fma_f64 v[20:21], v[4:5], s[12:13], v[54:55]
	v_fma_f64 v[50:51], v[4:5], s[10:11], v[54:55]
	;; [unrolled: 1-line block ×5, first 2 shown]
	v_add_f64 v[12:13], v[10:11], v[12:13]
	v_fma_f64 v[66:67], v[6:7], s[14:15], v[176:177]
	v_fma_f64 v[58:59], v[194:195], s[14:15], v[62:63]
	v_fma_f64 v[62:63], v[194:195], s[16:17], v[64:65]
	ds_store_b128 v193, v[42:45] offset:64
	ds_store_b128 v193, v[14:17] offset:80
	;; [unrolled: 1-line block ×6, first 2 shown]
	v_fma_f64 v[10:11], v[190:191], s[14:15], v[20:21]
	v_fma_f64 v[20:21], v[190:191], s[16:17], v[50:51]
	;; [unrolled: 1-line block ×11, first 2 shown]
	v_add_f64 v[18:19], v[168:169], v[152:153]
	v_add_f64 v[20:21], v[160:161], v[156:157]
	v_fma_f64 v[206:207], v[12:13], s[2:3], v[52:53]
	v_add_f64 v[12:13], v[170:171], v[154:155]
	v_add_f64 v[50:51], v[162:163], v[158:159]
	v_mul_f64 v[52:53], v[54:55], s[14:15]
	v_mul_f64 v[60:61], v[64:65], s[14:15]
	;; [unrolled: 1-line block ×3, first 2 shown]
	v_add_f64 v[18:19], v[18:19], v[164:165]
	v_add_f64 v[20:21], v[20:21], v[148:149]
	;; [unrolled: 1-line block ×4, first 2 shown]
	v_fma_f64 v[200:201], v[56:57], s[20:21], v[52:53]
	v_mul_f64 v[52:53], v[56:57], s[16:17]
	v_fma_f64 v[186:187], v[58:59], s[22:23], v[60:61]
	v_fma_f64 v[210:211], v[58:59], s[16:17], v[62:63]
	v_add_f64 v[18:19], v[18:19], v[144:145]
	v_add_f64 v[20:21], v[20:21], v[104:105]
	;; [unrolled: 1-line block ×4, first 2 shown]
	v_add_f64 v[180:181], v[184:185], -v[200:201]
	v_fma_f64 v[216:217], v[54:55], s[20:21], v[52:53]
	v_add_f64 v[172:173], v[10:11], v[186:187]
	v_add_f64 v[174:175], v[206:207], v[210:211]
	;; [unrolled: 1-line block ×6, first 2 shown]
	v_add_f64 v[182:183], v[188:189], -v[216:217]
	s_delay_alu instid0(VALU_DEP_4) | instskip(NEXT) | instid1(VALU_DEP_3)
	v_add_f64 v[176:177], v[202:203], -v[204:205]
	v_add_f64 v[178:179], v[212:213], -v[214:215]
	s_and_saveexec_b32 s1, vcc_lo
	s_cbranch_execz .LBB0_21
; %bb.20:
	v_add_f64 v[12:13], v[158:159], v[86:87]
	v_add_f64 v[14:15], v[156:157], v[84:85]
	;; [unrolled: 1-line block ×3, first 2 shown]
	v_add_f64 v[18:19], v[150:151], -v[158:159]
	v_add_f64 v[20:21], v[152:153], v[108:109]
	v_add_f64 v[22:23], v[106:107], -v[86:87]
	v_add_f64 v[26:27], v[104:105], -v[84:85]
	;; [unrolled: 1-line block ×5, first 2 shown]
	v_fma_f64 v[12:13], v[12:13], -0.5, v[162:163]
	v_fma_f64 v[14:15], v[14:15], -0.5, v[160:161]
	;; [unrolled: 1-line block ×4, first 2 shown]
	v_add_f64 v[18:19], v[18:19], v[22:23]
	v_fma_f64 v[24:25], v[6:7], s[10:11], v[12:13]
	v_fma_f64 v[6:7], v[6:7], s[12:13], v[12:13]
	v_add_f64 v[12:13], v[148:149], -v[156:157]
	v_fma_f64 v[22:23], v[194:195], s[12:13], v[14:15]
	v_fma_f64 v[14:15], v[194:195], s[10:11], v[14:15]
	;; [unrolled: 1-line block ×6, first 2 shown]
	v_add_f64 v[6:7], v[166:167], -v[154:155]
	v_add_f64 v[12:13], v[12:13], v[26:27]
	v_fma_f64 v[26:27], v[208:209], s[10:11], v[16:17]
	v_fma_f64 v[16:17], v[208:209], s[12:13], v[16:17]
	;; [unrolled: 1-line block ×4, first 2 shown]
	v_add_f64 v[14:15], v[30:31], v[32:33]
	v_fma_f64 v[24:25], v[18:19], s[2:3], v[24:25]
	v_fma_f64 v[0:1], v[18:19], s[2:3], v[0:1]
	v_add_f64 v[6:7], v[6:7], v[28:29]
	v_fma_f64 v[18:19], v[8:9], s[14:15], v[26:27]
	v_fma_f64 v[8:9], v[8:9], s[16:17], v[16:17]
	;; [unrolled: 1-line block ×6, first 2 shown]
	v_mul_f64 v[22:23], v[24:25], s[18:19]
	v_mul_f64 v[12:13], v[0:1], s[2:3]
	;; [unrolled: 1-line block ×4, first 2 shown]
	v_fma_f64 v[26:27], v[6:7], s[2:3], v[18:19]
	v_fma_f64 v[8:9], v[6:7], s[2:3], v[8:9]
	;; [unrolled: 1-line block ×4, first 2 shown]
	v_add_f64 v[14:15], v[212:213], v[214:215]
	v_add_f64 v[6:7], v[188:189], v[216:217]
	;; [unrolled: 1-line block ×3, first 2 shown]
	v_fma_f64 v[22:23], v[20:21], s[10:11], v[22:23]
	v_fma_f64 v[30:31], v[2:3], s[10:11], v[12:13]
	;; [unrolled: 1-line block ×4, first 2 shown]
	v_add_f64 v[12:13], v[202:203], v[204:205]
	v_add_f64 v[2:3], v[206:207], -v[210:211]
	v_add_f64 v[18:19], v[26:27], -v[22:23]
	v_add_f64 v[22:23], v[26:27], v[22:23]
	v_add_f64 v[26:27], v[8:9], v[30:31]
	v_add_f64 v[30:31], v[8:9], -v[30:31]
	scratch_load_b32 v8, off, off offset:1452 ; 4-byte Folded Reload
	v_add_f64 v[24:25], v[28:29], v[0:1]
	v_add_f64 v[20:21], v[16:17], v[32:33]
	v_add_f64 v[28:29], v[28:29], -v[0:1]
	v_add_f64 v[16:17], v[16:17], -v[32:33]
	;; [unrolled: 1-line block ×3, first 2 shown]
	s_waitcnt vmcnt(0)
	v_lshlrev_b32_e32 v8, 4, v8
	ds_store_b128 v8, v[172:175] offset:64
	ds_store_b128 v8, v[176:179] offset:80
	ds_store_b128 v8, v[12:15]
	ds_store_b128 v8, v[4:7] offset:16
	ds_store_b128 v8, v[24:27] offset:32
	ds_store_b128 v8, v[20:23] offset:48
	ds_store_b128 v8, v[180:183] offset:96
	ds_store_b128 v8, v[28:31] offset:112
	ds_store_b128 v8, v[16:19] offset:128
	ds_store_b128 v8, v[0:3] offset:144
.LBB0_21:
	s_or_b32 exec_lo, exec_lo, s1
	s_waitcnt lgkmcnt(0)
	s_barrier
	buffer_gl0_inv
	ds_load_b128 v[0:3], v192 offset:1440
	ds_load_b128 v[152:155], v192 offset:2880
	;; [unrolled: 1-line block ×22, first 2 shown]
	ds_load_b128 v[156:159], v192
	ds_load_b128 v[160:163], v192 offset:34080
	s_and_saveexec_b32 s1, s0
	s_cbranch_execz .LBB0_23
; %bb.22:
	ds_load_b128 v[176:179], v192 offset:23520
	ds_load_b128 v[172:175], v192 offset:11520
	ds_load_b128 v[180:183], v192 offset:35520
.LBB0_23:
	s_or_b32 exec_lo, exec_lo, s1
	s_clause 0x1
	scratch_load_b128 v[8:11], off, off offset:488
	scratch_load_b128 v[24:27], off, off offset:1168
	s_mov_b32 s2, 0xe8584caa
	s_mov_b32 s3, 0xbfebb67a
	;; [unrolled: 1-line block ×4, first 2 shown]
	s_waitcnt vmcnt(1) lgkmcnt(5)
	v_mul_f64 v[4:5], v[10:11], v[242:243]
	s_delay_alu instid0(VALU_DEP_1) | instskip(SKIP_1) | instid1(VALU_DEP_1)
	v_fma_f64 v[6:7], v[8:9], v[240:241], v[4:5]
	v_mul_f64 v[4:5], v[10:11], v[240:241]
	v_fma_f64 v[14:15], v[8:9], v[242:243], -v[4:5]
	scratch_load_b128 v[8:11], off, off offset:584 ; 16-byte Folded Reload
	s_waitcnt vmcnt(0) lgkmcnt(3)
	v_mul_f64 v[4:5], v[10:11], v[238:239]
	s_delay_alu instid0(VALU_DEP_1) | instskip(SKIP_1) | instid1(VALU_DEP_2)
	v_fma_f64 v[22:23], v[8:9], v[236:237], v[4:5]
	v_mul_f64 v[4:5], v[10:11], v[236:237]
	v_add_f64 v[20:21], v[6:7], v[22:23]
	s_delay_alu instid0(VALU_DEP_2) | instskip(SKIP_3) | instid1(VALU_DEP_1)
	v_fma_f64 v[18:19], v[8:9], v[238:239], -v[4:5]
	scratch_load_b128 v[8:11], off, off offset:600 ; 16-byte Folded Reload
	s_waitcnt vmcnt(0)
	v_mul_f64 v[4:5], v[10:11], v[234:235]
	v_fma_f64 v[34:35], v[8:9], v[232:233], v[4:5]
	v_mul_f64 v[4:5], v[10:11], v[232:233]
	s_delay_alu instid0(VALU_DEP_1) | instskip(SKIP_3) | instid1(VALU_DEP_1)
	v_fma_f64 v[30:31], v[8:9], v[234:235], -v[4:5]
	scratch_load_b128 v[8:11], off, off offset:616 ; 16-byte Folded Reload
	s_waitcnt vmcnt(0)
	v_mul_f64 v[4:5], v[10:11], v[230:231]
	v_fma_f64 v[36:37], v[8:9], v[228:229], v[4:5]
	v_mul_f64 v[4:5], v[10:11], v[228:229]
	s_delay_alu instid0(VALU_DEP_1) | instskip(SKIP_4) | instid1(VALU_DEP_1)
	v_fma_f64 v[32:33], v[8:9], v[230:231], -v[4:5]
	scratch_load_b128 v[8:11], off, off offset:632 ; 16-byte Folded Reload
	v_add_f64 v[38:39], v[30:31], -v[32:33]
	s_waitcnt vmcnt(0)
	v_mul_f64 v[4:5], v[10:11], v[226:227]
	v_fma_f64 v[46:47], v[8:9], v[224:225], v[4:5]
	v_mul_f64 v[4:5], v[10:11], v[224:225]
	s_delay_alu instid0(VALU_DEP_1) | instskip(SKIP_3) | instid1(VALU_DEP_1)
	v_fma_f64 v[42:43], v[8:9], v[226:227], -v[4:5]
	scratch_load_b128 v[8:11], off, off offset:648 ; 16-byte Folded Reload
	s_waitcnt vmcnt(0)
	v_mul_f64 v[4:5], v[10:11], v[222:223]
	v_fma_f64 v[48:49], v[8:9], v[220:221], v[4:5]
	v_mul_f64 v[4:5], v[10:11], v[220:221]
	s_delay_alu instid0(VALU_DEP_1) | instskip(SKIP_4) | instid1(VALU_DEP_1)
	v_fma_f64 v[44:45], v[8:9], v[222:223], -v[4:5]
	scratch_load_b128 v[8:11], off, off offset:1088 ; 16-byte Folded Reload
	v_add_f64 v[50:51], v[42:43], -v[44:45]
	;; [unrolled: 15-line block ×4, first 2 shown]
	s_waitcnt vmcnt(0)
	v_mul_f64 v[4:5], v[10:11], v[206:207]
	v_fma_f64 v[78:79], v[8:9], v[204:205], v[4:5]
	v_mul_f64 v[4:5], v[10:11], v[204:205]
	s_delay_alu instid0(VALU_DEP_1) | instskip(SKIP_3) | instid1(VALU_DEP_1)
	v_fma_f64 v[193:194], v[8:9], v[206:207], -v[4:5]
	scratch_load_b128 v[8:11], off, off offset:1184 ; 16-byte Folded Reload
	s_waitcnt vmcnt(0)
	v_mul_f64 v[4:5], v[10:11], v[190:191]
	v_fma_f64 v[200:201], v[8:9], v[188:189], v[4:5]
	v_mul_f64 v[4:5], v[10:11], v[188:189]
	s_delay_alu instid0(VALU_DEP_1) | instskip(SKIP_3) | instid1(VALU_DEP_1)
	v_fma_f64 v[188:189], v[8:9], v[190:191], -v[4:5]
	scratch_load_b128 v[8:11], off, off offset:1248 ; 16-byte Folded Reload
	s_waitcnt vmcnt(0)
	v_mul_f64 v[4:5], v[10:11], v[186:187]
	v_fma_f64 v[190:191], v[8:9], v[184:185], v[4:5]
	v_mul_f64 v[4:5], v[10:11], v[184:185]
	s_delay_alu instid0(VALU_DEP_1) | instskip(SKIP_3) | instid1(VALU_DEP_1)
	v_fma_f64 v[184:185], v[8:9], v[186:187], -v[4:5]
	scratch_load_b128 v[8:11], off, off offset:1216 ; 16-byte Folded Reload
	s_waitcnt vmcnt(0)
	v_mul_f64 v[4:5], v[10:11], v[170:171]
	v_fma_f64 v[186:187], v[8:9], v[168:169], v[4:5]
	v_mul_f64 v[4:5], v[10:11], v[168:169]
	scratch_load_b128 v[10:13], off, off offset:1232 ; 16-byte Folded Reload
	v_fma_f64 v[168:169], v[8:9], v[170:171], -v[4:5]
	s_waitcnt vmcnt(0) lgkmcnt(2)
	v_mul_f64 v[4:5], v[12:13], v[166:167]
	v_mul_f64 v[8:9], v[12:13], v[164:165]
	s_delay_alu instid0(VALU_DEP_2) | instskip(NEXT) | instid1(VALU_DEP_2)
	v_fma_f64 v[4:5], v[10:11], v[164:165], v[4:5]
	v_fma_f64 v[164:165], v[10:11], v[166:167], -v[8:9]
	scratch_load_b128 v[10:13], off, off offset:1152 ; 16-byte Folded Reload
	s_waitcnt vmcnt(0) lgkmcnt(0)
	v_mul_f64 v[8:9], v[12:13], v[162:163]
	s_delay_alu instid0(VALU_DEP_1) | instskip(SKIP_1) | instid1(VALU_DEP_1)
	v_fma_f64 v[166:167], v[10:11], v[160:161], v[8:9]
	v_mul_f64 v[8:9], v[12:13], v[160:161]
	v_fma_f64 v[160:161], v[10:11], v[162:163], -v[8:9]
	v_mul_f64 v[8:9], v[26:27], v[178:179]
	v_mul_f64 v[10:11], v[26:27], v[176:177]
	s_delay_alu instid0(VALU_DEP_2) | instskip(NEXT) | instid1(VALU_DEP_2)
	v_fma_f64 v[8:9], v[24:25], v[176:177], v[8:9]
	v_fma_f64 v[16:17], v[24:25], v[178:179], -v[10:11]
	scratch_load_b128 v[24:27], off, off offset:1136 ; 16-byte Folded Reload
	s_waitcnt vmcnt(0)
	s_barrier
	buffer_gl0_inv
	v_mul_f64 v[10:11], v[26:27], v[182:183]
	v_mul_f64 v[12:13], v[26:27], v[180:181]
	v_add_f64 v[26:27], v[156:157], v[6:7]
	v_add_f64 v[6:7], v[6:7], -v[22:23]
	s_delay_alu instid0(VALU_DEP_4) | instskip(NEXT) | instid1(VALU_DEP_4)
	v_fma_f64 v[10:11], v[24:25], v[180:181], v[10:11]
	v_fma_f64 v[12:13], v[24:25], v[182:183], -v[12:13]
	v_fma_f64 v[24:25], v[20:21], -0.5, v[156:157]
	v_add_f64 v[20:21], v[14:15], v[18:19]
	s_delay_alu instid0(VALU_DEP_1) | instskip(SKIP_2) | instid1(VALU_DEP_2)
	v_fma_f64 v[28:29], v[20:21], -0.5, v[158:159]
	v_add_f64 v[20:21], v[158:159], v[14:15]
	v_add_f64 v[14:15], v[14:15], -v[18:19]
	v_add_f64 v[20:21], v[20:21], v[18:19]
	v_add_f64 v[18:19], v[26:27], v[22:23]
	s_delay_alu instid0(VALU_DEP_3)
	v_fma_f64 v[22:23], v[14:15], s[2:3], v[24:25]
	v_fma_f64 v[26:27], v[14:15], s[10:11], v[24:25]
	;; [unrolled: 1-line block ×4, first 2 shown]
	v_add_f64 v[6:7], v[34:35], v[36:37]
	v_add_f64 v[14:15], v[30:31], v[32:33]
	s_delay_alu instid0(VALU_DEP_2) | instskip(SKIP_1) | instid1(VALU_DEP_3)
	v_fma_f64 v[6:7], v[6:7], -0.5, v[0:1]
	v_add_f64 v[0:1], v[0:1], v[34:35]
	v_fma_f64 v[14:15], v[14:15], -0.5, v[2:3]
	v_add_f64 v[2:3], v[2:3], v[30:31]
	s_delay_alu instid0(VALU_DEP_3) | instskip(SKIP_1) | instid1(VALU_DEP_3)
	v_add_f64 v[30:31], v[0:1], v[36:37]
	v_add_f64 v[0:1], v[34:35], -v[36:37]
	v_add_f64 v[32:33], v[2:3], v[32:33]
	v_fma_f64 v[34:35], v[38:39], s[2:3], v[6:7]
	v_fma_f64 v[38:39], v[38:39], s[10:11], v[6:7]
	v_add_f64 v[2:3], v[42:43], v[44:45]
	v_add_f64 v[6:7], v[154:155], v[42:43]
	v_fma_f64 v[36:37], v[0:1], s[10:11], v[14:15]
	v_fma_f64 v[40:41], v[0:1], s[2:3], v[14:15]
	v_add_f64 v[0:1], v[46:47], v[48:49]
	v_add_f64 v[14:15], v[152:153], v[46:47]
	v_fma_f64 v[2:3], v[2:3], -0.5, v[154:155]
	v_add_f64 v[44:45], v[6:7], v[44:45]
	v_add_f64 v[6:7], v[46:47], -v[48:49]
	v_fma_f64 v[0:1], v[0:1], -0.5, v[152:153]
	v_add_f64 v[42:43], v[14:15], v[48:49]
	v_add_f64 v[14:15], v[148:149], v[58:59]
	s_delay_alu instid0(VALU_DEP_4)
	v_fma_f64 v[48:49], v[6:7], s[10:11], v[2:3]
	v_fma_f64 v[52:53], v[6:7], s[2:3], v[2:3]
	v_add_f64 v[2:3], v[54:55], v[56:57]
	v_add_f64 v[6:7], v[150:151], v[54:55]
	v_fma_f64 v[46:47], v[50:51], s[2:3], v[0:1]
	v_fma_f64 v[50:51], v[50:51], s[10:11], v[0:1]
	v_add_f64 v[0:1], v[58:59], v[60:61]
	v_add_f64 v[54:55], v[14:15], v[60:61]
	v_add_f64 v[14:15], v[144:145], v[70:71]
	v_fma_f64 v[2:3], v[2:3], -0.5, v[150:151]
	v_add_f64 v[56:57], v[6:7], v[56:57]
	v_add_f64 v[6:7], v[58:59], -v[60:61]
	v_fma_f64 v[0:1], v[0:1], -0.5, v[148:149]
	s_delay_alu instid0(VALU_DEP_2)
	v_fma_f64 v[60:61], v[6:7], s[10:11], v[2:3]
	v_fma_f64 v[64:65], v[6:7], s[2:3], v[2:3]
	v_add_f64 v[2:3], v[66:67], v[68:69]
	v_add_f64 v[6:7], v[146:147], v[66:67]
	;; [unrolled: 1-line block ×4, first 2 shown]
	v_fma_f64 v[58:59], v[62:63], s[2:3], v[0:1]
	v_fma_f64 v[62:63], v[62:63], s[10:11], v[0:1]
	v_add_f64 v[0:1], v[70:71], v[72:73]
	v_fma_f64 v[2:3], v[2:3], -0.5, v[146:147]
	v_add_f64 v[68:69], v[6:7], v[68:69]
	v_add_f64 v[6:7], v[70:71], -v[72:73]
	v_add_f64 v[146:147], v[193:194], -v[188:189]
	v_fma_f64 v[0:1], v[0:1], -0.5, v[144:145]
	s_delay_alu instid0(VALU_DEP_3)
	v_fma_f64 v[72:73], v[6:7], s[10:11], v[2:3]
	v_fma_f64 v[76:77], v[6:7], s[2:3], v[2:3]
	v_add_f64 v[2:3], v[193:194], v[188:189]
	v_add_f64 v[6:7], v[110:111], v[193:194]
	v_fma_f64 v[70:71], v[74:75], s[2:3], v[0:1]
	v_fma_f64 v[74:75], v[74:75], s[10:11], v[0:1]
	v_add_f64 v[0:1], v[78:79], v[200:201]
	v_fma_f64 v[2:3], v[2:3], -0.5, v[110:111]
	v_add_f64 v[110:111], v[6:7], v[188:189]
	v_add_f64 v[6:7], v[78:79], -v[200:201]
	v_add_f64 v[78:79], v[184:185], -v[168:169]
	v_fma_f64 v[0:1], v[0:1], -0.5, v[108:109]
	v_add_f64 v[108:109], v[14:15], v[200:201]
	v_add_f64 v[14:15], v[104:105], v[190:191]
	v_fma_f64 v[150:151], v[6:7], s[2:3], v[2:3]
	s_delay_alu instid0(VALU_DEP_4)
	v_fma_f64 v[144:145], v[146:147], s[2:3], v[0:1]
	v_fma_f64 v[148:149], v[146:147], s[10:11], v[0:1]
	v_add_f64 v[0:1], v[190:191], v[186:187]
	v_fma_f64 v[146:147], v[6:7], s[10:11], v[2:3]
	v_add_f64 v[2:3], v[184:185], v[168:169]
	v_add_f64 v[6:7], v[106:107], v[184:185]
	s_delay_alu instid0(VALU_DEP_4) | instskip(SKIP_1) | instid1(VALU_DEP_4)
	v_fma_f64 v[0:1], v[0:1], -0.5, v[104:105]
	v_add_f64 v[104:105], v[14:15], v[186:187]
	v_fma_f64 v[2:3], v[2:3], -0.5, v[106:107]
	s_delay_alu instid0(VALU_DEP_4)
	v_add_f64 v[106:107], v[6:7], v[168:169]
	v_add_f64 v[6:7], v[190:191], -v[186:187]
	v_add_f64 v[14:15], v[84:85], v[4:5]
	v_fma_f64 v[152:153], v[78:79], s[2:3], v[0:1]
	v_fma_f64 v[156:157], v[78:79], s[10:11], v[0:1]
	v_add_f64 v[0:1], v[4:5], v[166:167]
	v_add_f64 v[78:79], v[164:165], -v[160:161]
	v_fma_f64 v[154:155], v[6:7], s[10:11], v[2:3]
	v_fma_f64 v[158:159], v[6:7], s[2:3], v[2:3]
	v_add_f64 v[2:3], v[164:165], v[160:161]
	v_add_f64 v[6:7], v[86:87], v[164:165]
	v_add_f64 v[4:5], v[4:5], -v[166:167]
	v_fma_f64 v[0:1], v[0:1], -0.5, v[84:85]
	v_add_f64 v[84:85], v[14:15], v[166:167]
	v_add_f64 v[14:15], v[8:9], -v[10:11]
	v_fma_f64 v[2:3], v[2:3], -0.5, v[86:87]
	v_add_f64 v[86:87], v[6:7], v[160:161]
	v_fma_f64 v[160:161], v[78:79], s[2:3], v[0:1]
	v_fma_f64 v[164:165], v[78:79], s[10:11], v[0:1]
	v_add_f64 v[0:1], v[8:9], v[10:11]
	v_fma_f64 v[162:163], v[4:5], s[10:11], v[2:3]
	v_fma_f64 v[166:167], v[4:5], s[2:3], v[2:3]
	v_add_f64 v[4:5], v[16:17], -v[12:13]
	s_delay_alu instid0(VALU_DEP_4) | instskip(SKIP_1) | instid1(VALU_DEP_1)
	v_fma_f64 v[2:3], v[0:1], -0.5, v[172:173]
	v_add_f64 v[0:1], v[16:17], v[12:13]
	v_fma_f64 v[6:7], v[0:1], -0.5, v[174:175]
	s_delay_alu instid0(VALU_DEP_3) | instskip(SKIP_1) | instid1(VALU_DEP_3)
	v_fma_f64 v[0:1], v[4:5], s[2:3], v[2:3]
	v_fma_f64 v[4:5], v[4:5], s[10:11], v[2:3]
	;; [unrolled: 1-line block ×4, first 2 shown]
	scratch_load_b32 v14, off, off offset:760 ; 4-byte Folded Reload
	s_waitcnt vmcnt(0)
	ds_store_b128 v14, v[18:21]
	ds_store_b128 v14, v[22:25] offset:160
	ds_store_b128 v14, v[26:29] offset:320
	scratch_load_b32 v14, off, off offset:724 ; 4-byte Folded Reload
	s_waitcnt vmcnt(0)
	ds_store_b128 v14, v[30:33]
	ds_store_b128 v14, v[34:37] offset:160
	ds_store_b128 v14, v[38:41] offset:320
	;; [unrolled: 5-line block ×8, first 2 shown]
	s_and_saveexec_b32 s1, s0
	s_cbranch_execz .LBB0_25
; %bb.24:
	v_add_f64 v[8:9], v[172:173], v[8:9]
	v_add_f64 v[14:15], v[174:175], v[16:17]
	s_delay_alu instid0(VALU_DEP_2) | instskip(SKIP_4) | instid1(VALU_DEP_1)
	v_add_f64 v[10:11], v[8:9], v[10:11]
	scratch_load_b32 v8, off, off offset:664 ; 4-byte Folded Reload
	v_add_f64 v[12:13], v[14:15], v[12:13]
	s_waitcnt vmcnt(0)
	v_and_b32_e32 v8, 0xffff, v8
	v_lshlrev_b32_e32 v8, 4, v8
	ds_store_b128 v8, v[0:3] offset:160
	ds_store_b128 v8, v[10:13]
	ds_store_b128 v8, v[4:7] offset:320
.LBB0_25:
	s_or_b32 exec_lo, exec_lo, s1
	s_waitcnt lgkmcnt(0)
	s_barrier
	buffer_gl0_inv
	ds_load_b128 v[8:11], v192 offset:7200
	ds_load_b128 v[12:15], v192 offset:14400
	;; [unrolled: 1-line block ×3, first 2 shown]
	s_clause 0x1
	scratch_load_b128 v[38:41], off, off offset:468
	scratch_load_b128 v[44:47], off, off offset:504
	ds_load_b128 v[20:23], v192 offset:15840
	ds_load_b128 v[24:27], v192 offset:21600
	s_mov_b32 s2, 0x134454ff
	s_mov_b32 s3, 0xbfee6f0e
	;; [unrolled: 1-line block ×10, first 2 shown]
	s_waitcnt vmcnt(1) lgkmcnt(4)
	v_mul_f64 v[28:29], v[40:41], v[10:11]
	v_mul_f64 v[30:31], v[40:41], v[8:9]
	s_waitcnt vmcnt(0) lgkmcnt(3)
	v_mul_f64 v[32:33], v[46:47], v[14:15]
	v_mul_f64 v[34:35], v[46:47], v[12:13]
	scratch_load_b128 v[46:49], off, off offset:520 ; 16-byte Folded Reload
	v_fma_f64 v[36:37], v[38:39], v[8:9], v[28:29]
	v_fma_f64 v[38:39], v[38:39], v[10:11], -v[30:31]
	ds_load_b128 v[8:11], v192 offset:20160
	v_fma_f64 v[32:33], v[44:45], v[12:13], v[32:33]
	v_fma_f64 v[34:35], v[44:45], v[14:15], -v[34:35]
	ds_load_b128 v[12:15], v192 offset:28800
	ds_load_b128 v[28:31], v192 offset:30240
	s_clause 0x1
	scratch_load_b128 v[50:53], off, off offset:568
	scratch_load_b128 v[54:57], off, off offset:452
	s_waitcnt vmcnt(2) lgkmcnt(3)
	v_mul_f64 v[40:41], v[48:49], v[26:27]
	v_mul_f64 v[42:43], v[48:49], v[24:25]
	s_delay_alu instid0(VALU_DEP_2) | instskip(NEXT) | instid1(VALU_DEP_2)
	v_fma_f64 v[40:41], v[46:47], v[24:25], v[40:41]
	v_fma_f64 v[42:43], v[46:47], v[26:27], -v[42:43]
	s_waitcnt vmcnt(1) lgkmcnt(1)
	v_mul_f64 v[44:45], v[52:53], v[14:15]
	v_mul_f64 v[24:25], v[52:53], v[12:13]
	s_waitcnt vmcnt(0)
	v_mul_f64 v[46:47], v[56:57], v[22:23]
	v_mul_f64 v[48:49], v[56:57], v[20:21]
	s_delay_alu instid0(VALU_DEP_4) | instskip(NEXT) | instid1(VALU_DEP_4)
	v_fma_f64 v[44:45], v[50:51], v[12:13], v[44:45]
	v_fma_f64 v[50:51], v[50:51], v[14:15], -v[24:25]
	ds_load_b128 v[12:15], v192 offset:23040
	ds_load_b128 v[24:27], v192 offset:24480
	s_clause 0x3
	scratch_load_b128 v[56:59], off, off offset:436
	scratch_load_b128 v[72:75], off, off offset:536
	;; [unrolled: 1-line block ×4, first 2 shown]
	v_fma_f64 v[46:47], v[54:55], v[20:21], v[46:47]
	v_fma_f64 v[48:49], v[54:55], v[22:23], -v[48:49]
	ds_load_b128 v[20:23], v192 offset:8640
	s_waitcnt vmcnt(3) lgkmcnt(2)
	v_mul_f64 v[52:53], v[58:59], v[14:15]
	v_mul_f64 v[54:55], v[58:59], v[12:13]
	s_waitcnt vmcnt(0)
	v_mul_f64 v[60:61], v[68:69], v[30:31]
	s_delay_alu instid0(VALU_DEP_3) | instskip(NEXT) | instid1(VALU_DEP_3)
	v_fma_f64 v[52:53], v[56:57], v[12:13], v[52:53]
	v_fma_f64 v[54:55], v[56:57], v[14:15], -v[54:55]
	ds_load_b128 v[12:15], v192 offset:10080
	s_waitcnt lgkmcnt(1)
	v_mul_f64 v[56:57], v[64:65], v[22:23]
	v_mul_f64 v[58:59], v[64:65], v[20:21]
	v_fma_f64 v[60:61], v[66:67], v[28:29], v[60:61]
	s_waitcnt lgkmcnt(0)
	v_mul_f64 v[64:65], v[74:75], v[12:13]
	s_delay_alu instid0(VALU_DEP_4) | instskip(SKIP_3) | instid1(VALU_DEP_3)
	v_fma_f64 v[56:57], v[62:63], v[20:21], v[56:57]
	v_mul_f64 v[20:21], v[68:69], v[28:29]
	v_fma_f64 v[58:59], v[62:63], v[22:23], -v[58:59]
	v_mul_f64 v[62:63], v[74:75], v[14:15]
	v_fma_f64 v[66:67], v[66:67], v[30:31], -v[20:21]
	ds_load_b128 v[20:23], v192 offset:17280
	ds_load_b128 v[28:31], v192 offset:18720
	s_clause 0x2
	scratch_load_b128 v[74:77], off, off offset:552
	scratch_load_b128 v[104:107], off, off offset:880
	;; [unrolled: 1-line block ×3, first 2 shown]
	v_fma_f64 v[70:71], v[72:73], v[12:13], v[62:63]
	v_fma_f64 v[72:73], v[72:73], v[14:15], -v[64:65]
	v_add_f64 v[178:179], v[58:59], -v[48:49]
	v_add_f64 v[174:175], v[58:59], v[66:67]
	v_add_f64 v[176:177], v[58:59], -v[66:67]
	v_add_f64 v[180:181], v[66:67], -v[54:55]
	s_waitcnt vmcnt(2) lgkmcnt(1)
	v_mul_f64 v[68:69], v[76:77], v[22:23]
	v_mul_f64 v[12:13], v[76:77], v[20:21]
	s_waitcnt vmcnt(0)
	v_mul_f64 v[62:63], v[110:111], v[26:27]
	v_mul_f64 v[64:65], v[110:111], v[24:25]
	s_delay_alu instid0(VALU_DEP_4) | instskip(NEXT) | instid1(VALU_DEP_4)
	v_fma_f64 v[68:69], v[74:75], v[20:21], v[68:69]
	v_fma_f64 v[74:75], v[74:75], v[22:23], -v[12:13]
	ds_load_b128 v[12:15], v192 offset:31680
	v_fma_f64 v[84:85], v[108:109], v[24:25], v[62:63]
	v_fma_f64 v[86:87], v[108:109], v[26:27], -v[64:65]
	ds_load_b128 v[20:23], v192 offset:11520
	ds_load_b128 v[24:27], v192 offset:12960
	scratch_load_b128 v[144:147], off, off offset:944 ; 16-byte Folded Reload
	s_waitcnt lgkmcnt(2)
	v_mul_f64 v[76:77], v[106:107], v[14:15]
	v_mul_f64 v[78:79], v[106:107], v[12:13]
	scratch_load_b128 v[106:109], off, off offset:912 ; 16-byte Folded Reload
	v_fma_f64 v[76:77], v[104:105], v[12:13], v[76:77]
	v_fma_f64 v[78:79], v[104:105], v[14:15], -v[78:79]
	s_waitcnt vmcnt(1) lgkmcnt(1)
	v_mul_f64 v[62:63], v[146:147], v[22:23]
	v_mul_f64 v[12:13], v[146:147], v[20:21]
	s_waitcnt vmcnt(0)
	v_mul_f64 v[64:65], v[108:109], v[30:31]
	v_mul_f64 v[104:105], v[108:109], v[28:29]
	s_delay_alu instid0(VALU_DEP_4) | instskip(NEXT) | instid1(VALU_DEP_4)
	v_fma_f64 v[108:109], v[144:145], v[20:21], v[62:63]
	v_fma_f64 v[110:111], v[144:145], v[22:23], -v[12:13]
	ds_load_b128 v[12:15], v192 offset:25920
	ds_load_b128 v[20:23], v192 offset:27360
	s_clause 0x5
	scratch_load_b128 v[150:153], off, off offset:960
	scratch_load_b128 v[154:157], off, off offset:928
	;; [unrolled: 1-line block ×6, first 2 shown]
	v_fma_f64 v[144:145], v[106:107], v[28:29], v[64:65]
	v_fma_f64 v[146:147], v[106:107], v[30:31], -v[104:105]
	ds_load_b128 v[28:31], v192 offset:33120
	s_waitcnt vmcnt(5) lgkmcnt(2)
	v_mul_f64 v[62:63], v[152:153], v[14:15]
	v_mul_f64 v[64:65], v[152:153], v[12:13]
	s_waitcnt vmcnt(3)
	v_mul_f64 v[104:105], v[160:161], v[26:27]
	s_delay_alu instid0(VALU_DEP_3) | instskip(NEXT) | instid1(VALU_DEP_3)
	v_fma_f64 v[148:149], v[150:151], v[12:13], v[62:63]
	v_fma_f64 v[150:151], v[150:151], v[14:15], -v[64:65]
	ds_load_b128 v[12:15], v192 offset:34560
	s_waitcnt lgkmcnt(1)
	v_mul_f64 v[62:63], v[156:157], v[30:31]
	v_mul_f64 v[64:65], v[156:157], v[28:29]
	v_fma_f64 v[156:157], v[158:159], v[24:25], v[104:105]
	v_add_f64 v[104:105], v[32:33], v[40:41]
	s_delay_alu instid0(VALU_DEP_4)
	v_fma_f64 v[152:153], v[154:155], v[28:29], v[62:63]
	v_mul_f64 v[28:29], v[160:161], v[24:25]
	v_fma_f64 v[154:155], v[154:155], v[30:31], -v[64:65]
	s_waitcnt vmcnt(1)
	v_mul_f64 v[30:31], v[164:165], v[10:11]
	v_mul_f64 v[62:63], v[164:165], v[8:9]
	;; [unrolled: 1-line block ×3, first 2 shown]
	v_fma_f64 v[158:159], v[158:159], v[26:27], -v[28:29]
	v_mul_f64 v[28:29], v[168:169], v[20:21]
	ds_load_b128 v[24:27], v192
	v_fma_f64 v[160:161], v[162:163], v[8:9], v[30:31]
	v_fma_f64 v[162:163], v[162:163], v[10:11], -v[62:63]
	ds_load_b128 v[8:11], v192 offset:1440
	s_waitcnt vmcnt(0) lgkmcnt(2)
	v_mul_f64 v[30:31], v[172:173], v[14:15]
	v_mul_f64 v[62:63], v[172:173], v[12:13]
	v_fma_f64 v[164:165], v[166:167], v[20:21], v[64:65]
	v_add_f64 v[64:65], v[38:39], -v[50:51]
	v_add_f64 v[20:21], v[36:37], -v[32:33]
	;; [unrolled: 1-line block ×3, first 2 shown]
	s_waitcnt lgkmcnt(0)
	v_fma_f64 v[174:175], v[174:175], -0.5, v[10:11]
	v_fma_f64 v[166:167], v[166:167], v[22:23], -v[28:29]
	v_add_f64 v[22:23], v[44:45], -v[40:41]
	v_fma_f64 v[28:29], v[104:105], -0.5, v[24:25]
	v_add_f64 v[104:105], v[34:35], v[42:43]
	v_fma_f64 v[168:169], v[170:171], v[12:13], v[30:31]
	v_fma_f64 v[170:171], v[170:171], v[14:15], -v[62:63]
	v_add_f64 v[30:31], v[34:35], -v[42:43]
	v_add_f64 v[62:63], v[36:37], -v[44:45]
	v_add_f64 v[12:13], v[38:39], -v[34:35]
	v_add_f64 v[14:15], v[50:51], -v[42:43]
	v_add_f64 v[20:21], v[20:21], v[22:23]
	v_fma_f64 v[22:23], v[64:65], s[2:3], v[28:29]
	v_fma_f64 v[104:105], v[104:105], -0.5, v[26:27]
	s_delay_alu instid0(VALU_DEP_4) | instskip(NEXT) | instid1(VALU_DEP_3)
	v_add_f64 v[106:107], v[12:13], v[14:15]
	v_fma_f64 v[12:13], v[30:31], s[10:11], v[22:23]
	v_fma_f64 v[22:23], v[64:65], s[16:17], v[28:29]
	s_delay_alu instid0(VALU_DEP_4)
	v_fma_f64 v[28:29], v[62:63], s[2:3], v[104:105]
	v_fma_f64 v[14:15], v[62:63], s[16:17], v[104:105]
	v_add_f64 v[104:105], v[38:39], v[50:51]
	v_fma_f64 v[12:13], v[20:21], s[12:13], v[12:13]
	v_fma_f64 v[22:23], v[30:31], s[14:15], v[22:23]
	;; [unrolled: 1-line block ×4, first 2 shown]
	v_fma_f64 v[104:105], v[104:105], -0.5, v[26:27]
	v_add_f64 v[26:27], v[26:27], v[38:39]
	v_fma_f64 v[20:21], v[20:21], s[12:13], v[22:23]
	v_fma_f64 v[22:23], v[106:107], s[12:13], v[28:29]
	v_add_f64 v[28:29], v[36:37], v[44:45]
	v_fma_f64 v[14:15], v[106:107], s[12:13], v[14:15]
	v_add_f64 v[26:27], v[26:27], v[34:35]
	v_add_f64 v[106:107], v[48:49], v[54:55]
	s_delay_alu instid0(VALU_DEP_4) | instskip(SKIP_2) | instid1(VALU_DEP_4)
	v_fma_f64 v[28:29], v[28:29], -0.5, v[24:25]
	v_add_f64 v[24:25], v[24:25], v[36:37]
	v_add_f64 v[36:37], v[32:33], -v[36:37]
	v_fma_f64 v[106:107], v[106:107], -0.5, v[10:11]
	v_add_f64 v[10:11], v[10:11], v[58:59]
	v_add_f64 v[26:27], v[26:27], v[42:43]
	v_add_f64 v[42:43], v[42:43], -v[50:51]
	v_add_f64 v[58:59], v[48:49], -v[58:59]
	v_add_f64 v[24:25], v[24:25], v[32:33]
	v_add_f64 v[32:33], v[34:35], -v[38:39]
	v_add_f64 v[34:35], v[46:47], v[52:53]
	v_add_f64 v[38:39], v[56:57], v[60:61]
	;; [unrolled: 1-line block ×4, first 2 shown]
	v_fma_f64 v[50:51], v[30:31], s[2:3], v[28:29]
	v_add_f64 v[48:49], v[48:49], -v[54:55]
	v_add_f64 v[24:25], v[24:25], v[40:41]
	v_add_f64 v[40:41], v[40:41], -v[44:45]
	v_fma_f64 v[34:35], v[34:35], -0.5, v[8:9]
	v_fma_f64 v[38:39], v[38:39], -0.5, v[8:9]
	v_add_f64 v[8:9], v[8:9], v[56:57]
	v_add_f64 v[10:11], v[10:11], v[54:55]
	v_add_f64 v[54:55], v[54:55], -v[66:67]
	v_fma_f64 v[50:51], v[64:65], s[14:15], v[50:51]
	v_add_f64 v[24:25], v[24:25], v[44:45]
	v_fma_f64 v[44:45], v[30:31], s[16:17], v[28:29]
	v_add_f64 v[36:37], v[36:37], v[40:41]
	v_add_f64 v[40:41], v[32:33], v[42:43]
	;; [unrolled: 1-line block ×4, first 2 shown]
	v_add_f64 v[10:11], v[46:47], -v[56:57]
	v_add_f64 v[66:67], v[60:61], -v[52:53]
	v_fma_f64 v[32:33], v[172:173], s[2:3], v[104:105]
	v_fma_f64 v[42:43], v[172:173], s[16:17], v[104:105]
	v_add_f64 v[54:55], v[58:59], v[54:55]
	v_fma_f64 v[58:59], v[176:177], s[2:3], v[34:35]
	v_fma_f64 v[34:35], v[176:177], s[16:17], v[34:35]
	;; [unrolled: 1-line block ×3, first 2 shown]
	v_add_f64 v[8:9], v[8:9], v[52:53]
	v_fma_f64 v[64:65], v[62:63], s[14:15], v[32:33]
	v_fma_f64 v[42:43], v[62:63], s[10:11], v[42:43]
	;; [unrolled: 1-line block ×6, first 2 shown]
	v_add_f64 v[28:29], v[8:9], v[60:61]
	v_add_f64 v[8:9], v[56:57], -v[46:47]
	v_add_f64 v[56:57], v[56:57], -v[60:61]
	;; [unrolled: 1-line block ×4, first 2 shown]
	v_fma_f64 v[172:173], v[176:177], s[14:15], v[38:39]
	v_fma_f64 v[38:39], v[40:41], s[12:13], v[42:43]
	v_add_f64 v[8:9], v[8:9], v[66:67]
	v_fma_f64 v[62:63], v[56:57], s[2:3], v[106:107]
	v_add_f64 v[52:53], v[10:11], v[60:61]
	;; [unrolled: 2-line block ×3, first 2 shown]
	v_fma_f64 v[34:35], v[46:47], s[2:3], v[174:175]
	v_fma_f64 v[66:67], v[46:47], s[16:17], v[174:175]
	v_add_f64 v[106:107], v[70:71], -v[68:69]
	v_add_f64 v[174:175], v[76:77], -v[84:85]
	;; [unrolled: 1-line block ×4, first 2 shown]
	v_fma_f64 v[60:61], v[46:47], s[14:15], v[60:61]
	v_fma_f64 v[46:47], v[46:47], s[10:11], v[62:63]
	;; [unrolled: 1-line block ×6, first 2 shown]
	v_add_f64 v[64:65], v[72:73], -v[74:75]
	v_add_f64 v[66:67], v[78:79], -v[86:87]
	v_fma_f64 v[32:33], v[36:37], s[12:13], v[44:45]
	v_fma_f64 v[40:41], v[8:9], s[12:13], v[58:59]
	;; [unrolled: 1-line block ×4, first 2 shown]
	v_add_f64 v[176:177], v[70:71], -v[76:77]
	v_fma_f64 v[42:43], v[10:11], s[12:13], v[60:61]
	v_add_f64 v[60:61], v[68:69], v[84:85]
	v_fma_f64 v[46:47], v[10:11], s[12:13], v[46:47]
	ds_load_b128 v[8:11], v192 offset:2880
	v_fma_f64 v[48:49], v[52:53], s[12:13], v[62:63]
	v_fma_f64 v[50:51], v[54:55], s[12:13], v[104:105]
	;; [unrolled: 1-line block ×3, first 2 shown]
	ds_load_b128 v[56:59], v192 offset:4320
	v_add_f64 v[104:105], v[106:107], v[174:175]
	v_add_f64 v[62:63], v[74:75], v[86:87]
	;; [unrolled: 1-line block ×3, first 2 shown]
	v_add_f64 v[106:107], v[72:73], -v[78:79]
	v_fma_f64 v[52:53], v[52:53], s[12:13], v[172:173]
	v_add_f64 v[174:175], v[74:75], -v[86:87]
	s_waitcnt lgkmcnt(0)
	s_barrier
	buffer_gl0_inv
	v_fma_f64 v[64:65], v[60:61], -0.5, v[8:9]
	v_fma_f64 v[172:173], v[62:63], -0.5, v[10:11]
	s_delay_alu instid0(VALU_DEP_2) | instskip(SKIP_1) | instid1(VALU_DEP_3)
	v_fma_f64 v[60:61], v[106:107], s[2:3], v[64:65]
	v_fma_f64 v[64:65], v[106:107], s[16:17], v[64:65]
	;; [unrolled: 1-line block ×4, first 2 shown]
	s_delay_alu instid0(VALU_DEP_4) | instskip(NEXT) | instid1(VALU_DEP_4)
	v_fma_f64 v[60:61], v[174:175], s[10:11], v[60:61]
	v_fma_f64 v[64:65], v[174:175], s[14:15], v[64:65]
	s_delay_alu instid0(VALU_DEP_4) | instskip(NEXT) | instid1(VALU_DEP_4)
	v_fma_f64 v[62:63], v[178:179], s[14:15], v[62:63]
	v_fma_f64 v[172:173], v[178:179], s[10:11], v[172:173]
	;; [unrolled: 3-line block ×3, first 2 shown]
	v_add_f64 v[104:105], v[70:71], v[76:77]
	v_fma_f64 v[62:63], v[66:67], s[12:13], v[62:63]
	v_fma_f64 v[66:67], v[66:67], s[12:13], v[172:173]
	v_add_f64 v[172:173], v[72:73], v[78:79]
	s_delay_alu instid0(VALU_DEP_4) | instskip(SKIP_1) | instid1(VALU_DEP_3)
	v_fma_f64 v[104:105], v[104:105], -0.5, v[8:9]
	v_add_f64 v[8:9], v[8:9], v[70:71]
	v_fma_f64 v[172:173], v[172:173], -0.5, v[10:11]
	v_add_f64 v[10:11], v[10:11], v[72:73]
	v_add_f64 v[72:73], v[74:75], -v[72:73]
	v_fma_f64 v[182:183], v[174:175], s[16:17], v[104:105]
	v_add_f64 v[8:9], v[8:9], v[68:69]
	v_fma_f64 v[104:105], v[174:175], s[2:3], v[104:105]
	v_add_f64 v[174:175], v[110:111], -v[154:155]
	v_add_f64 v[10:11], v[10:11], v[74:75]
	v_add_f64 v[74:75], v[84:85], -v[76:77]
	v_add_f64 v[8:9], v[8:9], v[84:85]
	v_fma_f64 v[84:85], v[106:107], s[14:15], v[104:105]
	s_delay_alu instid0(VALU_DEP_4) | instskip(NEXT) | instid1(VALU_DEP_3)
	v_add_f64 v[10:11], v[10:11], v[86:87]
	v_add_f64 v[68:69], v[8:9], v[76:77]
	v_add_f64 v[8:9], v[86:87], -v[78:79]
	v_fma_f64 v[76:77], v[178:179], s[16:17], v[172:173]
	v_add_f64 v[86:87], v[108:109], -v[144:145]
	v_add_f64 v[70:71], v[10:11], v[78:79]
	v_fma_f64 v[10:11], v[178:179], s[2:3], v[172:173]
	v_add_f64 v[78:79], v[180:181], v[74:75]
	v_fma_f64 v[74:75], v[106:107], s[10:11], v[182:183]
	v_add_f64 v[178:179], v[108:109], -v[152:153]
	v_add_f64 v[180:181], v[144:145], -v[148:149]
	v_add_f64 v[8:9], v[72:73], v[8:9]
	v_add_f64 v[72:73], v[152:153], -v[148:149]
	v_fma_f64 v[104:105], v[176:177], s[10:11], v[76:77]
	v_add_f64 v[76:77], v[110:111], -v[146:147]
	v_fma_f64 v[10:11], v[176:177], s[14:15], v[10:11]
	v_add_f64 v[176:177], v[146:147], -v[150:151]
	v_add_f64 v[106:107], v[86:87], v[72:73]
	v_add_f64 v[72:73], v[154:155], -v[150:151]
	s_delay_alu instid0(VALU_DEP_1)
	v_add_f64 v[172:173], v[76:77], v[72:73]
	v_fma_f64 v[72:73], v[78:79], s[12:13], v[74:75]
	v_fma_f64 v[74:75], v[8:9], s[12:13], v[10:11]
	v_add_f64 v[10:11], v[144:145], v[148:149]
	v_fma_f64 v[76:77], v[78:79], s[12:13], v[84:85]
	v_fma_f64 v[78:79], v[8:9], s[12:13], v[104:105]
	v_add_f64 v[8:9], v[146:147], v[150:151]
	s_delay_alu instid0(VALU_DEP_4) | instskip(NEXT) | instid1(VALU_DEP_2)
	v_fma_f64 v[10:11], v[10:11], -0.5, v[56:57]
	v_fma_f64 v[8:9], v[8:9], -0.5, v[58:59]
	s_delay_alu instid0(VALU_DEP_2) | instskip(SKIP_1) | instid1(VALU_DEP_3)
	v_fma_f64 v[84:85], v[174:175], s[2:3], v[10:11]
	v_fma_f64 v[10:11], v[174:175], s[16:17], v[10:11]
	v_fma_f64 v[86:87], v[178:179], s[16:17], v[8:9]
	v_fma_f64 v[8:9], v[178:179], s[2:3], v[8:9]
	s_delay_alu instid0(VALU_DEP_4) | instskip(NEXT) | instid1(VALU_DEP_4)
	v_fma_f64 v[84:85], v[176:177], s[10:11], v[84:85]
	v_fma_f64 v[10:11], v[176:177], s[14:15], v[10:11]
	s_delay_alu instid0(VALU_DEP_4) | instskip(NEXT) | instid1(VALU_DEP_4)
	v_fma_f64 v[86:87], v[180:181], s[14:15], v[86:87]
	v_fma_f64 v[8:9], v[180:181], s[10:11], v[8:9]
	;; [unrolled: 3-line block ×3, first 2 shown]
	v_add_f64 v[10:11], v[110:111], v[154:155]
	v_fma_f64 v[86:87], v[172:173], s[12:13], v[86:87]
	v_fma_f64 v[106:107], v[172:173], s[12:13], v[8:9]
	v_add_f64 v[8:9], v[108:109], v[152:153]
	v_add_f64 v[172:173], v[162:163], -v[166:167]
	v_fma_f64 v[10:11], v[10:11], -0.5, v[58:59]
	v_add_f64 v[58:59], v[58:59], v[110:111]
	v_add_f64 v[110:111], v[146:147], -v[110:111]
	v_fma_f64 v[8:9], v[8:9], -0.5, v[56:57]
	v_add_f64 v[56:57], v[56:57], v[108:109]
	v_add_f64 v[108:109], v[144:145], -v[108:109]
	v_add_f64 v[58:59], v[58:59], v[146:147]
	v_fma_f64 v[146:147], v[180:181], s[2:3], v[10:11]
	v_fma_f64 v[10:11], v[180:181], s[16:17], v[10:11]
	v_add_f64 v[56:57], v[56:57], v[144:145]
	v_fma_f64 v[144:145], v[176:177], s[16:17], v[8:9]
	v_fma_f64 v[8:9], v[176:177], s[2:3], v[8:9]
	v_add_f64 v[176:177], v[158:159], -v[170:171]
	v_add_f64 v[58:59], v[58:59], v[150:151]
	v_fma_f64 v[10:11], v[178:179], s[10:11], v[10:11]
	v_add_f64 v[56:57], v[56:57], v[148:149]
	v_add_f64 v[148:149], v[148:149], -v[152:153]
	v_fma_f64 v[8:9], v[174:175], s[14:15], v[8:9]
	v_add_f64 v[58:59], v[58:59], v[154:155]
	s_delay_alu instid0(VALU_DEP_4) | instskip(NEXT) | instid1(VALU_DEP_4)
	v_add_f64 v[56:57], v[56:57], v[152:153]
	v_add_f64 v[148:149], v[108:109], v[148:149]
	v_fma_f64 v[108:109], v[174:175], s[10:11], v[144:145]
	v_add_f64 v[144:145], v[150:151], -v[154:155]
	v_add_f64 v[152:153], v[160:161], -v[156:157]
	v_add_f64 v[154:155], v[162:163], v[166:167]
	s_delay_alu instid0(VALU_DEP_4) | instskip(NEXT) | instid1(VALU_DEP_4)
	v_fma_f64 v[108:109], v[148:149], s[12:13], v[108:109]
	v_add_f64 v[150:151], v[110:111], v[144:145]
	v_fma_f64 v[110:111], v[178:179], s[14:15], v[146:147]
	v_fma_f64 v[144:145], v[148:149], s[12:13], v[8:9]
	v_add_f64 v[8:9], v[164:165], -v[168:169]
	v_add_f64 v[148:149], v[166:167], -v[170:171]
	v_fma_f64 v[154:155], v[154:155], -0.5, v[18:19]
	v_fma_f64 v[146:147], v[150:151], s[12:13], v[10:11]
	v_add_f64 v[10:11], v[162:163], -v[158:159]
	v_fma_f64 v[110:111], v[150:151], s[12:13], v[110:111]
	v_add_f64 v[8:9], v[152:153], v[8:9]
	v_add_f64 v[152:153], v[160:161], v[164:165]
	;; [unrolled: 1-line block ×5, first 2 shown]
	s_delay_alu instid0(VALU_DEP_4) | instskip(NEXT) | instid1(VALU_DEP_4)
	v_fma_f64 v[152:153], v[152:153], -0.5, v[16:17]
	v_fma_f64 v[150:151], v[150:151], -0.5, v[18:19]
	v_add_f64 v[18:19], v[18:19], v[158:159]
	v_add_f64 v[158:159], v[158:159], -v[162:163]
	v_fma_f64 v[148:149], v[148:149], -0.5, v[16:17]
	v_add_f64 v[16:17], v[16:17], v[156:157]
	s_delay_alu instid0(VALU_DEP_4) | instskip(SKIP_1) | instid1(VALU_DEP_4)
	v_add_f64 v[18:19], v[18:19], v[162:163]
	v_add_f64 v[162:163], v[160:161], -v[164:165]
	v_fma_f64 v[174:175], v[172:173], s[16:17], v[148:149]
	s_delay_alu instid0(VALU_DEP_4)
	v_add_f64 v[16:17], v[16:17], v[160:161]
	v_fma_f64 v[148:149], v[172:173], s[2:3], v[148:149]
	v_add_f64 v[160:161], v[156:157], -v[160:161]
	v_add_f64 v[18:19], v[18:19], v[166:167]
	v_add_f64 v[156:157], v[156:157], -v[168:169]
	v_add_f64 v[166:167], v[170:171], -v[166:167]
	v_fma_f64 v[174:175], v[176:177], s[10:11], v[174:175]
	v_add_f64 v[16:17], v[16:17], v[164:165]
	v_fma_f64 v[178:179], v[176:177], s[14:15], v[148:149]
	v_fma_f64 v[148:149], v[176:177], s[2:3], v[152:153]
	v_fma_f64 v[152:153], v[176:177], s[16:17], v[152:153]
	v_add_f64 v[164:165], v[168:169], -v[164:165]
	v_add_f64 v[18:19], v[18:19], v[170:171]
	v_fma_f64 v[170:171], v[156:157], s[16:17], v[154:155]
	v_fma_f64 v[154:155], v[156:157], s[2:3], v[154:155]
	v_add_f64 v[166:167], v[158:159], v[166:167]
	v_add_f64 v[16:17], v[16:17], v[168:169]
	v_fma_f64 v[168:169], v[162:163], s[2:3], v[150:151]
	v_fma_f64 v[150:151], v[162:163], s[16:17], v[150:151]
	v_add_f64 v[160:161], v[160:161], v[164:165]
	v_fma_f64 v[164:165], v[172:173], s[14:15], v[152:153]
	v_fma_f64 v[152:153], v[8:9], s[12:13], v[178:179]
	;; [unrolled: 1-line block ×13, first 2 shown]
	scratch_load_b32 v160, off, off offset:876 ; 4-byte Folded Reload
	v_fma_f64 v[10:11], v[166:167], s[12:13], v[162:163]
	s_waitcnt vmcnt(0)
	ds_store_b128 v160, v[24:27]
	ds_store_b128 v160, v[12:15] offset:480
	ds_store_b128 v160, v[32:35] offset:960
	ds_store_b128 v160, v[36:39] offset:1440
	ds_store_b128 v160, v[20:23] offset:1920
	scratch_load_b32 v12, off, off offset:872 ; 4-byte Folded Reload
	s_waitcnt vmcnt(0)
	ds_store_b128 v12, v[28:31]
	ds_store_b128 v12, v[40:43] offset:480
	ds_store_b128 v12, v[48:51] offset:960
	ds_store_b128 v12, v[52:55] offset:1440
	ds_store_b128 v12, v[44:47] offset:1920
	scratch_load_b32 v12, off, off offset:868 ; 4-byte Folded Reload
	s_waitcnt vmcnt(0)
	ds_store_b128 v12, v[68:71]
	ds_store_b128 v12, v[60:63] offset:480
	ds_store_b128 v12, v[72:75] offset:960
	ds_store_b128 v12, v[76:79] offset:1440
	ds_store_b128 v12, v[64:67] offset:1920
	scratch_load_b32 v12, off, off offset:864 ; 4-byte Folded Reload
	s_waitcnt vmcnt(0)
	ds_store_b128 v12, v[56:59]
	ds_store_b128 v12, v[84:87] offset:480
	ds_store_b128 v12, v[108:111] offset:960
	ds_store_b128 v12, v[144:147] offset:1440
	ds_store_b128 v12, v[104:107] offset:1920
	scratch_load_b32 v12, off, off offset:860 ; 4-byte Folded Reload
	s_waitcnt vmcnt(0)
	ds_store_b128 v12, v[16:19]
	ds_store_b128 v12, v[156:159] offset:480
	ds_store_b128 v12, v[148:151] offset:960
	;; [unrolled: 1-line block ×4, first 2 shown]
	s_waitcnt lgkmcnt(0)
	s_barrier
	buffer_gl0_inv
	ds_load_b128 v[36:39], v192 offset:1440
	ds_load_b128 v[32:35], v192 offset:2880
	;; [unrolled: 1-line block ×22, first 2 shown]
	ds_load_b128 v[40:43], v192
	ds_load_b128 v[84:87], v192 offset:34080
	s_and_saveexec_b32 s1, s0
	s_cbranch_execz .LBB0_27
; %bb.26:
	ds_load_b128 v[0:3], v192 offset:23520
	ds_load_b128 v[8:11], v192 offset:11520
	;; [unrolled: 1-line block ×3, first 2 shown]
.LBB0_27:
	s_or_b32 exec_lo, exec_lo, s1
	s_clause 0x7
	scratch_load_b128 v[48:51], off, off offset:688
	scratch_load_b128 v[52:55], off, off offset:704
	;; [unrolled: 1-line block ×8, first 2 shown]
	s_mov_b32 s2, 0xe8584caa
	s_mov_b32 s3, 0xbfebb67a
	;; [unrolled: 1-line block ×4, first 2 shown]
	s_waitcnt vmcnt(7) lgkmcnt(5)
	v_mul_f64 v[44:45], v[50:51], v[202:203]
	v_mul_f64 v[46:47], v[50:51], v[200:201]
	s_waitcnt vmcnt(6) lgkmcnt(3)
	v_mul_f64 v[50:51], v[54:55], v[188:189]
	s_delay_alu instid0(VALU_DEP_3) | instskip(NEXT) | instid1(VALU_DEP_3)
	v_fma_f64 v[44:45], v[48:49], v[200:201], v[44:45]
	v_fma_f64 v[46:47], v[48:49], v[202:203], -v[46:47]
	v_mul_f64 v[48:49], v[54:55], v[190:191]
	s_delay_alu instid0(VALU_DEP_4) | instskip(SKIP_2) | instid1(VALU_DEP_3)
	v_fma_f64 v[50:51], v[52:53], v[190:191], -v[50:51]
	s_waitcnt vmcnt(5)
	v_mul_f64 v[54:55], v[58:59], v[184:185]
	v_fma_f64 v[48:49], v[52:53], v[188:189], v[48:49]
	v_mul_f64 v[52:53], v[58:59], v[186:187]
	s_delay_alu instid0(VALU_DEP_3) | instskip(SKIP_2) | instid1(VALU_DEP_3)
	v_fma_f64 v[54:55], v[56:57], v[186:187], -v[54:55]
	s_waitcnt vmcnt(4)
	v_mul_f64 v[58:59], v[62:63], v[180:181]
	v_fma_f64 v[52:53], v[56:57], v[184:185], v[52:53]
	v_mul_f64 v[56:57], v[62:63], v[182:183]
	s_delay_alu instid0(VALU_DEP_3) | instskip(SKIP_2) | instid1(VALU_DEP_3)
	v_fma_f64 v[58:59], v[60:61], v[182:183], -v[58:59]
	s_waitcnt vmcnt(3)
	v_mul_f64 v[62:63], v[66:67], v[176:177]
	v_fma_f64 v[56:57], v[60:61], v[180:181], v[56:57]
	v_mul_f64 v[60:61], v[66:67], v[178:179]
	s_delay_alu instid0(VALU_DEP_3) | instskip(SKIP_2) | instid1(VALU_DEP_3)
	v_fma_f64 v[62:63], v[64:65], v[178:179], -v[62:63]
	s_waitcnt vmcnt(2)
	v_mul_f64 v[66:67], v[70:71], v[168:169]
	v_fma_f64 v[60:61], v[64:65], v[176:177], v[60:61]
	v_mul_f64 v[64:65], v[70:71], v[170:171]
	s_delay_alu instid0(VALU_DEP_3) | instskip(SKIP_2) | instid1(VALU_DEP_3)
	v_fma_f64 v[66:67], v[68:69], v[170:171], -v[66:67]
	s_waitcnt vmcnt(1)
	v_mul_f64 v[70:71], v[74:75], v[172:173]
	v_fma_f64 v[64:65], v[68:69], v[168:169], v[64:65]
	v_mul_f64 v[68:69], v[74:75], v[174:175]
	s_delay_alu instid0(VALU_DEP_3) | instskip(SKIP_2) | instid1(VALU_DEP_3)
	v_fma_f64 v[70:71], v[72:73], v[174:175], -v[70:71]
	s_waitcnt vmcnt(0)
	v_mul_f64 v[74:75], v[78:79], v[164:165]
	v_fma_f64 v[68:69], v[72:73], v[172:173], v[68:69]
	v_mul_f64 v[72:73], v[78:79], v[166:167]
	s_delay_alu instid0(VALU_DEP_3) | instskip(NEXT) | instid1(VALU_DEP_2)
	v_fma_f64 v[74:75], v[76:77], v[166:167], -v[74:75]
	v_fma_f64 v[72:73], v[76:77], v[164:165], v[72:73]
	scratch_load_b128 v[164:167], off, off offset:1264 ; 16-byte Folded Reload
	s_waitcnt vmcnt(0)
	v_mul_f64 v[76:77], v[166:167], v[162:163]
	v_mul_f64 v[78:79], v[166:167], v[160:161]
	s_delay_alu instid0(VALU_DEP_2) | instskip(NEXT) | instid1(VALU_DEP_2)
	v_fma_f64 v[76:77], v[164:165], v[160:161], v[76:77]
	v_fma_f64 v[78:79], v[164:165], v[162:163], -v[78:79]
	scratch_load_b128 v[162:165], off, off offset:1280 ; 16-byte Folded Reload
	v_add_f64 v[176:177], v[24:25], v[76:77]
	v_add_f64 v[178:179], v[26:27], v[78:79]
	s_waitcnt vmcnt(0)
	v_mul_f64 v[160:161], v[164:165], v[154:155]
	s_delay_alu instid0(VALU_DEP_1) | instskip(SKIP_1) | instid1(VALU_DEP_1)
	v_fma_f64 v[160:161], v[162:163], v[152:153], v[160:161]
	v_mul_f64 v[152:153], v[164:165], v[152:153]
	v_fma_f64 v[152:153], v[162:163], v[154:155], -v[152:153]
	scratch_load_b128 v[162:165], off, off offset:1312 ; 16-byte Folded Reload
	s_waitcnt vmcnt(0)
	v_mul_f64 v[154:155], v[164:165], v[158:159]
	s_delay_alu instid0(VALU_DEP_1) | instskip(SKIP_1) | instid1(VALU_DEP_2)
	v_fma_f64 v[154:155], v[162:163], v[156:157], v[154:155]
	v_mul_f64 v[156:157], v[164:165], v[156:157]
	v_add_f64 v[184:185], v[20:21], v[154:155]
	s_delay_alu instid0(VALU_DEP_2) | instskip(SKIP_4) | instid1(VALU_DEP_1)
	v_fma_f64 v[156:157], v[162:163], v[158:159], -v[156:157]
	scratch_load_b128 v[162:165], off, off offset:1328 ; 16-byte Folded Reload
	v_add_f64 v[186:187], v[22:23], v[156:157]
	s_waitcnt vmcnt(0)
	v_mul_f64 v[158:159], v[164:165], v[150:151]
	v_fma_f64 v[158:159], v[162:163], v[148:149], v[158:159]
	v_mul_f64 v[148:149], v[164:165], v[148:149]
	s_delay_alu instid0(VALU_DEP_1) | instskip(SKIP_3) | instid1(VALU_DEP_1)
	v_fma_f64 v[148:149], v[162:163], v[150:151], -v[148:149]
	scratch_load_b128 v[162:165], off, off offset:1360 ; 16-byte Folded Reload
	s_waitcnt vmcnt(0)
	v_mul_f64 v[150:151], v[164:165], v[146:147]
	v_fma_f64 v[150:151], v[162:163], v[144:145], v[150:151]
	v_mul_f64 v[144:145], v[164:165], v[144:145]
	s_delay_alu instid0(VALU_DEP_1)
	v_fma_f64 v[144:145], v[162:163], v[146:147], -v[144:145]
	scratch_load_b128 v[162:165], off, off offset:1376 ; 16-byte Folded Reload
	s_waitcnt vmcnt(0) lgkmcnt(0)
	s_barrier
	buffer_gl0_inv
	v_mul_f64 v[146:147], v[164:165], v[110:111]
	s_delay_alu instid0(VALU_DEP_1) | instskip(SKIP_1) | instid1(VALU_DEP_1)
	v_fma_f64 v[146:147], v[162:163], v[108:109], v[146:147]
	v_mul_f64 v[108:109], v[164:165], v[108:109]
	v_fma_f64 v[108:109], v[162:163], v[110:111], -v[108:109]
	v_mul_f64 v[110:111], v[90:91], v[106:107]
	v_mul_f64 v[90:91], v[90:91], v[104:105]
	s_delay_alu instid0(VALU_DEP_2) | instskip(NEXT) | instid1(VALU_DEP_2)
	v_fma_f64 v[104:105], v[88:89], v[104:105], v[110:111]
	v_fma_f64 v[88:89], v[88:89], v[106:107], -v[90:91]
	v_mul_f64 v[90:91], v[82:83], v[86:87]
	v_mul_f64 v[82:83], v[82:83], v[84:85]
	v_add_f64 v[110:111], v[46:47], v[50:51]
	v_add_f64 v[106:107], v[44:45], v[48:49]
	s_delay_alu instid0(VALU_DEP_4) | instskip(NEXT) | instid1(VALU_DEP_4)
	v_fma_f64 v[162:163], v[80:81], v[84:85], v[90:91]
	v_fma_f64 v[164:165], v[80:81], v[86:87], -v[82:83]
	v_add_f64 v[80:81], v[52:53], v[56:57]
	v_add_f64 v[90:91], v[36:37], v[52:53]
	;; [unrolled: 1-line block ×3, first 2 shown]
	v_fma_f64 v[42:43], v[110:111], -0.5, v[42:43]
	v_add_f64 v[82:83], v[54:55], v[58:59]
	v_add_f64 v[84:85], v[40:41], v[44:45]
	v_fma_f64 v[40:41], v[106:107], -0.5, v[40:41]
	v_add_f64 v[106:107], v[38:39], v[54:55]
	v_add_f64 v[46:47], v[46:47], -v[50:51]
	v_add_f64 v[44:45], v[44:45], -v[48:49]
	;; [unrolled: 1-line block ×3, first 2 shown]
	v_fma_f64 v[80:81], v[80:81], -0.5, v[36:37]
	v_add_f64 v[36:37], v[60:61], v[64:65]
	v_fma_f64 v[82:83], v[82:83], -0.5, v[38:39]
	v_add_f64 v[38:39], v[62:63], v[66:67]
	s_delay_alu instid0(VALU_DEP_3) | instskip(SKIP_2) | instid1(VALU_DEP_4)
	v_fma_f64 v[110:111], v[36:37], -0.5, v[32:33]
	v_add_f64 v[36:37], v[68:69], v[72:73]
	v_add_f64 v[32:33], v[32:33], v[60:61]
	v_fma_f64 v[166:167], v[38:39], -0.5, v[34:35]
	v_add_f64 v[34:35], v[34:35], v[62:63]
	v_add_f64 v[38:39], v[30:31], v[70:71]
	v_fma_f64 v[168:169], v[36:37], -0.5, v[28:29]
	v_add_f64 v[36:37], v[70:71], v[74:75]
	s_delay_alu instid0(VALU_DEP_1)
	v_fma_f64 v[170:171], v[36:37], -0.5, v[30:31]
	v_add_f64 v[36:37], v[28:29], v[68:69]
	v_add_f64 v[28:29], v[76:77], v[160:161]
	;; [unrolled: 1-line block ×6, first 2 shown]
	v_fma_f64 v[172:173], v[28:29], -0.5, v[24:25]
	v_add_f64 v[24:25], v[154:155], v[158:159]
	v_add_f64 v[28:29], v[78:79], v[152:153]
	v_add_f64 v[154:155], v[154:155], -v[158:159]
	s_delay_alu instid0(VALU_DEP_3) | instskip(SKIP_1) | instid1(VALU_DEP_4)
	v_fma_f64 v[180:181], v[24:25], -0.5, v[20:21]
	v_add_f64 v[24:25], v[156:157], v[148:149]
	v_fma_f64 v[174:175], v[28:29], -0.5, v[26:27]
	v_add_f64 v[20:21], v[84:85], v[48:49]
	v_add_f64 v[26:27], v[106:107], v[58:59]
	v_add_f64 v[84:85], v[16:17], v[150:151]
	v_add_f64 v[48:49], v[54:55], -v[58:59]
	v_add_f64 v[54:55], v[62:63], -v[66:67]
	v_add_f64 v[28:29], v[32:33], v[64:65]
	v_add_f64 v[62:63], v[70:71], -v[74:75]
	v_add_f64 v[32:33], v[36:37], v[72:73]
	;; [unrolled: 2-line block ×3, first 2 shown]
	v_add_f64 v[74:75], v[76:77], -v[160:161]
	v_add_f64 v[58:59], v[60:61], -v[64:65]
	;; [unrolled: 1-line block ×4, first 2 shown]
	v_add_f64 v[176:177], v[12:13], v[104:105]
	v_add_f64 v[156:157], v[88:89], -v[164:165]
	v_fma_f64 v[182:183], v[24:25], -0.5, v[22:23]
	v_add_f64 v[22:23], v[86:87], v[50:51]
	v_add_f64 v[24:25], v[90:91], v[56:57]
	v_add_f64 v[50:51], v[52:53], -v[56:57]
	v_add_f64 v[52:53], v[150:151], v[146:147]
	v_add_f64 v[56:57], v[144:145], v[108:109]
	;; [unrolled: 1-line block ×3, first 2 shown]
	v_add_f64 v[144:145], v[144:145], -v[108:109]
	v_fma_f64 v[60:61], v[62:63], s[2:3], v[168:169]
	v_fma_f64 v[64:65], v[62:63], s[10:11], v[168:169]
	;; [unrolled: 1-line block ×9, first 2 shown]
	v_add_f64 v[150:151], v[150:151], -v[146:147]
	v_add_f64 v[84:85], v[84:85], v[146:147]
	v_fma_f64 v[90:91], v[52:53], -0.5, v[16:17]
	v_fma_f64 v[106:107], v[56:57], -0.5, v[18:19]
	v_add_f64 v[16:17], v[104:105], v[162:163]
	v_add_f64 v[18:19], v[88:89], v[164:165]
	v_fma_f64 v[52:53], v[54:55], s[2:3], v[110:111]
	v_fma_f64 v[56:57], v[54:55], s[10:11], v[110:111]
	;; [unrolled: 1-line block ×4, first 2 shown]
	v_add_f64 v[86:87], v[86:87], v[108:109]
	v_add_f64 v[108:109], v[176:177], v[162:163]
	v_add_f64 v[110:111], v[178:179], v[164:165]
	v_fma_f64 v[88:89], v[144:145], s[2:3], v[90:91]
	v_fma_f64 v[104:105], v[144:145], s[10:11], v[90:91]
	v_fma_f64 v[152:153], v[16:17], -0.5, v[12:13]
	v_fma_f64 v[160:161], v[18:19], -0.5, v[14:15]
	v_fma_f64 v[16:17], v[46:47], s[2:3], v[40:41]
	v_fma_f64 v[18:19], v[44:45], s[10:11], v[42:43]
	;; [unrolled: 1-line block ×4, first 2 shown]
	ds_store_b128 v192, v[20:23]
	ds_store_b128 v192, v[16:19] offset:2400
	ds_store_b128 v192, v[40:43] offset:4800
	scratch_load_b32 v16, off, off offset:1424 ; 4-byte Folded Reload
	v_fma_f64 v[44:45], v[48:49], s[2:3], v[80:81]
	v_fma_f64 v[46:47], v[50:51], s[10:11], v[82:83]
	;; [unrolled: 1-line block ×4, first 2 shown]
	v_add_f64 v[12:13], v[184:185], v[158:159]
	v_add_f64 v[14:15], v[186:187], v[148:149]
	v_fma_f64 v[80:81], v[78:79], s[10:11], v[180:181]
	v_fma_f64 v[78:79], v[154:155], s[10:11], v[182:183]
	;; [unrolled: 1-line block ×9, first 2 shown]
	s_waitcnt vmcnt(0)
	ds_store_b128 v16, v[24:27]
	ds_store_b128 v16, v[44:47] offset:2400
	ds_store_b128 v16, v[48:51] offset:4800
	;; [unrolled: 1-line block ×5, first 2 shown]
	scratch_load_b32 v16, off, off offset:1432 ; 4-byte Folded Reload
	s_waitcnt vmcnt(0)
	ds_store_b128 v16, v[32:35]
	ds_store_b128 v16, v[60:63] offset:2400
	ds_store_b128 v16, v[64:67] offset:4800
	scratch_load_b32 v16, off, off offset:1436 ; 4-byte Folded Reload
	s_waitcnt vmcnt(0)
	ds_store_b128 v16, v[36:39] offset:14400
	ds_store_b128 v16, v[68:71] offset:16800
	;; [unrolled: 1-line block ×3, first 2 shown]
	scratch_load_b32 v16, off, off offset:1428 ; 4-byte Folded Reload
	s_waitcnt vmcnt(0)
	ds_store_b128 v16, v[12:15] offset:21600
	ds_store_b128 v16, v[76:79] offset:24000
	;; [unrolled: 1-line block ×3, first 2 shown]
	scratch_load_b32 v12, off, off offset:1440 ; 4-byte Folded Reload
	s_waitcnt vmcnt(0)
	ds_store_b128 v12, v[84:87]
	ds_store_b128 v12, v[88:91] offset:2400
	ds_store_b128 v12, v[104:107] offset:4800
	scratch_load_b32 v12, off, off offset:1448 ; 4-byte Folded Reload
	s_waitcnt vmcnt(0)
	ds_store_b128 v12, v[144:147] offset:31200
	ds_store_b128 v12, v[108:111] offset:28800
	;; [unrolled: 1-line block ×3, first 2 shown]
	s_and_saveexec_b32 s1, s0
	s_cbranch_execz .LBB0_29
; %bb.28:
	s_clause 0x1
	scratch_load_b128 v[20:23], off, off offset:1456
	scratch_load_b128 v[24:27], off, off offset:1472
	s_waitcnt vmcnt(1)
	v_mul_f64 v[12:13], v[22:23], v[0:1]
	s_waitcnt vmcnt(0)
	v_mul_f64 v[14:15], v[26:27], v[4:5]
	v_mul_f64 v[16:17], v[22:23], v[2:3]
	;; [unrolled: 1-line block ×3, first 2 shown]
	s_delay_alu instid0(VALU_DEP_4) | instskip(NEXT) | instid1(VALU_DEP_4)
	v_fma_f64 v[2:3], v[20:21], v[2:3], -v[12:13]
	v_fma_f64 v[6:7], v[24:25], v[6:7], -v[14:15]
	s_delay_alu instid0(VALU_DEP_4) | instskip(NEXT) | instid1(VALU_DEP_4)
	v_fma_f64 v[0:1], v[20:21], v[0:1], v[16:17]
	v_fma_f64 v[4:5], v[24:25], v[4:5], v[18:19]
	s_delay_alu instid0(VALU_DEP_4) | instskip(NEXT) | instid1(VALU_DEP_4)
	v_add_f64 v[18:19], v[10:11], v[2:3]
	v_add_f64 v[12:13], v[2:3], v[6:7]
	v_add_f64 v[20:21], v[2:3], -v[6:7]
	s_delay_alu instid0(VALU_DEP_4)
	v_add_f64 v[14:15], v[0:1], v[4:5]
	v_add_f64 v[16:17], v[0:1], -v[4:5]
	v_add_f64 v[0:1], v[8:9], v[0:1]
	v_add_f64 v[2:3], v[18:19], v[6:7]
	v_fma_f64 v[10:11], v[12:13], -0.5, v[10:11]
	scratch_load_b32 v12, off, off offset:1444 ; 4-byte Folded Reload
	v_fma_f64 v[8:9], v[14:15], -0.5, v[8:9]
	v_add_f64 v[0:1], v[0:1], v[4:5]
	v_fma_f64 v[6:7], v[16:17], s[10:11], v[10:11]
	v_fma_f64 v[10:11], v[16:17], s[2:3], v[10:11]
	s_delay_alu instid0(VALU_DEP_4)
	v_fma_f64 v[4:5], v[20:21], s[2:3], v[8:9]
	v_fma_f64 v[8:9], v[20:21], s[10:11], v[8:9]
	s_waitcnt vmcnt(0)
	v_lshlrev_b32_e32 v12, 4, v12
	ds_store_b128 v12, v[4:7] offset:31200
	ds_store_b128 v12, v[0:3] offset:28800
	;; [unrolled: 1-line block ×3, first 2 shown]
.LBB0_29:
	s_or_b32 exec_lo, exec_lo, s1
	s_waitcnt lgkmcnt(0)
	s_barrier
	buffer_gl0_inv
	ds_load_b128 v[4:7], v192 offset:14400
	ds_load_b128 v[0:3], v192 offset:15840
	s_mov_b32 s10, 0x134454ff
	s_mov_b32 s11, 0xbfee6f0e
	s_mov_b32 s13, 0x3fee6f0e
	s_mov_b32 s12, s10
	s_mov_b32 s0, 0x4755a5e
	s_mov_b32 s1, 0xbfe2cf23
	s_mov_b32 s3, 0x3fe2cf23
	s_mov_b32 s2, s0
	s_mov_b32 s14, 0x372fe950
	s_mov_b32 s15, 0x3fd3c6ef
	s_waitcnt lgkmcnt(1)
	v_mul_f64 v[8:9], v[94:95], v[6:7]
	s_delay_alu instid0(VALU_DEP_1) | instskip(SKIP_1) | instid1(VALU_DEP_1)
	v_fma_f64 v[12:13], v[92:93], v[4:5], v[8:9]
	v_mul_f64 v[4:5], v[94:95], v[4:5]
	v_fma_f64 v[14:15], v[92:93], v[6:7], -v[4:5]
	ds_load_b128 v[8:11], v192 offset:21600
	ds_load_b128 v[4:7], v192 offset:20160
	s_waitcnt lgkmcnt(1)
	v_mul_f64 v[16:17], v[98:99], v[10:11]
	s_delay_alu instid0(VALU_DEP_1) | instskip(SKIP_1) | instid1(VALU_DEP_2)
	v_fma_f64 v[18:19], v[96:97], v[8:9], v[16:17]
	v_mul_f64 v[8:9], v[98:99], v[8:9]
	v_add_f64 v[110:111], v[12:13], -v[18:19]
	s_delay_alu instid0(VALU_DEP_2)
	v_fma_f64 v[16:17], v[96:97], v[10:11], -v[8:9]
	ds_load_b128 v[8:11], v192 offset:7200
	ds_load_b128 v[20:23], v192 offset:5760
	scratch_load_b128 v[26:29], off, off offset:780 ; 16-byte Folded Reload
	s_waitcnt vmcnt(0) lgkmcnt(1)
	v_mul_f64 v[24:25], v[28:29], v[10:11]
	s_delay_alu instid0(VALU_DEP_1) | instskip(SKIP_1) | instid1(VALU_DEP_1)
	v_fma_f64 v[32:33], v[26:27], v[8:9], v[24:25]
	v_mul_f64 v[8:9], v[28:29], v[8:9]
	v_fma_f64 v[34:35], v[26:27], v[10:11], -v[8:9]
	ds_load_b128 v[8:11], v192 offset:28800
	ds_load_b128 v[24:27], v192 offset:30240
	scratch_load_b128 v[38:41], off, off offset:1344 ; 16-byte Folded Reload
	s_waitcnt vmcnt(0) lgkmcnt(1)
	v_mul_f64 v[28:29], v[40:41], v[10:11]
	s_delay_alu instid0(VALU_DEP_1) | instskip(SKIP_1) | instid1(VALU_DEP_2)
	v_fma_f64 v[36:37], v[38:39], v[8:9], v[28:29]
	v_mul_f64 v[8:9], v[40:41], v[8:9]
	v_add_f64 v[108:109], v[32:33], -v[36:37]
	s_delay_alu instid0(VALU_DEP_2)
	v_fma_f64 v[38:39], v[38:39], v[10:11], -v[8:9]
	ds_load_b128 v[8:11], v192 offset:8640
	ds_load_b128 v[28:31], v192 offset:10080
	s_clause 0x1
	scratch_load_b128 v[42:45], off, off offset:796
	scratch_load_b128 v[46:49], off, off offset:844
	s_waitcnt vmcnt(1) lgkmcnt(1)
	v_mul_f64 v[40:41], v[44:45], v[10:11]
	s_delay_alu instid0(VALU_DEP_1) | instskip(SKIP_1) | instid1(VALU_DEP_1)
	v_fma_f64 v[40:41], v[42:43], v[8:9], v[40:41]
	v_mul_f64 v[8:9], v[44:45], v[8:9]
	v_fma_f64 v[42:43], v[42:43], v[10:11], -v[8:9]
	s_waitcnt vmcnt(0)
	v_mul_f64 v[8:9], v[48:49], v[2:3]
	s_delay_alu instid0(VALU_DEP_1) | instskip(SKIP_1) | instid1(VALU_DEP_1)
	v_fma_f64 v[44:45], v[46:47], v[0:1], v[8:9]
	v_mul_f64 v[0:1], v[48:49], v[0:1]
	v_fma_f64 v[46:47], v[46:47], v[2:3], -v[0:1]
	ds_load_b128 v[0:3], v192 offset:23040
	ds_load_b128 v[8:11], v192 offset:24480
	scratch_load_b128 v[50:53], off, off offset:1408 ; 16-byte Folded Reload
	s_waitcnt vmcnt(0) lgkmcnt(1)
	v_mul_f64 v[48:49], v[52:53], v[2:3]
	s_delay_alu instid0(VALU_DEP_1) | instskip(SKIP_1) | instid1(VALU_DEP_1)
	v_fma_f64 v[48:49], v[50:51], v[0:1], v[48:49]
	v_mul_f64 v[0:1], v[52:53], v[0:1]
	v_fma_f64 v[50:51], v[50:51], v[2:3], -v[0:1]
	v_mul_f64 v[0:1], v[198:199], v[26:27]
	s_delay_alu instid0(VALU_DEP_1) | instskip(SKIP_1) | instid1(VALU_DEP_1)
	v_fma_f64 v[52:53], v[196:197], v[24:25], v[0:1]
	v_mul_f64 v[0:1], v[198:199], v[24:25]
	v_fma_f64 v[54:55], v[196:197], v[26:27], -v[0:1]
	scratch_load_b128 v[24:27], off, off offset:764 ; 16-byte Folded Reload
	s_waitcnt vmcnt(0)
	v_mul_f64 v[0:1], v[26:27], v[30:31]
	s_delay_alu instid0(VALU_DEP_1) | instskip(SKIP_1) | instid1(VALU_DEP_1)
	v_fma_f64 v[60:61], v[24:25], v[28:29], v[0:1]
	v_mul_f64 v[0:1], v[26:27], v[28:29]
	v_fma_f64 v[62:63], v[24:25], v[30:31], -v[0:1]
	ds_load_b128 v[0:3], v192 offset:17280
	ds_load_b128 v[24:27], v192 offset:18720
	scratch_load_b128 v[56:59], off, off offset:1296 ; 16-byte Folded Reload
	s_waitcnt vmcnt(0) lgkmcnt(1)
	v_mul_f64 v[28:29], v[58:59], v[2:3]
	s_delay_alu instid0(VALU_DEP_1) | instskip(SKIP_3) | instid1(VALU_DEP_2)
	v_fma_f64 v[64:65], v[56:57], v[0:1], v[28:29]
	scratch_load_b128 v[28:31], off, off offset:1392 ; 16-byte Folded Reload
	v_mul_f64 v[0:1], v[58:59], v[0:1]
	v_add_f64 v[58:59], v[14:15], -v[16:17]
	v_fma_f64 v[66:67], v[56:57], v[2:3], -v[0:1]
	s_waitcnt vmcnt(0)
	v_mul_f64 v[0:1], v[30:31], v[10:11]
	s_delay_alu instid0(VALU_DEP_1) | instskip(SKIP_1) | instid1(VALU_DEP_1)
	v_fma_f64 v[68:69], v[28:29], v[8:9], v[0:1]
	v_mul_f64 v[0:1], v[30:31], v[8:9]
	v_fma_f64 v[70:71], v[28:29], v[10:11], -v[0:1]
	ds_load_b128 v[0:3], v192 offset:31680
	s_waitcnt lgkmcnt(0)
	v_mul_f64 v[8:9], v[102:103], v[2:3]
	s_delay_alu instid0(VALU_DEP_1) | instskip(SKIP_1) | instid1(VALU_DEP_1)
	v_fma_f64 v[72:73], v[100:101], v[0:1], v[8:9]
	v_mul_f64 v[0:1], v[102:103], v[0:1]
	v_fma_f64 v[74:75], v[100:101], v[2:3], -v[0:1]
	ds_load_b128 v[0:3], v192 offset:11520
	ds_load_b128 v[8:11], v192 offset:12960
	s_waitcnt lgkmcnt(1)
	v_mul_f64 v[28:29], v[122:123], v[2:3]
	s_delay_alu instid0(VALU_DEP_1) | instskip(SKIP_1) | instid1(VALU_DEP_1)
	v_fma_f64 v[76:77], v[120:121], v[0:1], v[28:29]
	v_mul_f64 v[0:1], v[122:123], v[0:1]
	v_fma_f64 v[78:79], v[120:121], v[2:3], -v[0:1]
	v_mul_f64 v[0:1], v[130:131], v[26:27]
	s_delay_alu instid0(VALU_DEP_1) | instskip(SKIP_1) | instid1(VALU_DEP_1)
	v_fma_f64 v[80:81], v[128:129], v[24:25], v[0:1]
	v_mul_f64 v[0:1], v[130:131], v[24:25]
	v_fma_f64 v[82:83], v[128:129], v[26:27], -v[0:1]
	ds_load_b128 v[0:3], v192 offset:25920
	ds_load_b128 v[24:27], v192 offset:27360
	s_waitcnt lgkmcnt(1)
	v_mul_f64 v[28:29], v[118:119], v[2:3]
	s_delay_alu instid0(VALU_DEP_1) | instskip(SKIP_2) | instid1(VALU_DEP_2)
	v_fma_f64 v[84:85], v[116:117], v[0:1], v[28:29]
	v_mul_f64 v[0:1], v[118:119], v[0:1]
	v_add_f64 v[118:119], v[64:65], -v[68:69]
	v_fma_f64 v[86:87], v[116:117], v[2:3], -v[0:1]
	ds_load_b128 v[0:3], v192 offset:33120
	ds_load_b128 v[28:31], v192 offset:34560
	v_add_f64 v[116:117], v[60:61], -v[72:73]
	s_waitcnt lgkmcnt(1)
	v_mul_f64 v[56:57], v[114:115], v[2:3]
	s_delay_alu instid0(VALU_DEP_1) | instskip(SKIP_3) | instid1(VALU_DEP_3)
	v_fma_f64 v[88:89], v[112:113], v[0:1], v[56:57]
	v_mul_f64 v[0:1], v[114:115], v[0:1]
	v_add_f64 v[56:57], v[34:35], -v[38:39]
	v_add_f64 v[114:115], v[66:67], -v[70:71]
	v_fma_f64 v[90:91], v[112:113], v[2:3], -v[0:1]
	v_mul_f64 v[0:1], v[138:139], v[10:11]
	v_add_f64 v[2:3], v[36:37], -v[18:19]
	v_add_f64 v[112:113], v[62:63], -v[74:75]
	s_delay_alu instid0(VALU_DEP_3) | instskip(SKIP_2) | instid1(VALU_DEP_2)
	v_fma_f64 v[92:93], v[136:137], v[8:9], v[0:1]
	v_mul_f64 v[0:1], v[138:139], v[8:9]
	v_add_f64 v[8:9], v[12:13], v[18:19]
	v_fma_f64 v[94:95], v[136:137], v[10:11], -v[0:1]
	v_mul_f64 v[0:1], v[142:143], v[6:7]
	s_delay_alu instid0(VALU_DEP_1) | instskip(SKIP_1) | instid1(VALU_DEP_1)
	v_fma_f64 v[96:97], v[140:141], v[4:5], v[0:1]
	v_mul_f64 v[0:1], v[142:143], v[4:5]
	v_fma_f64 v[98:99], v[140:141], v[6:7], -v[0:1]
	v_mul_f64 v[0:1], v[134:135], v[26:27]
	s_delay_alu instid0(VALU_DEP_1) | instskip(SKIP_1) | instid1(VALU_DEP_1)
	v_fma_f64 v[100:101], v[132:133], v[24:25], v[0:1]
	v_mul_f64 v[0:1], v[134:135], v[24:25]
	v_fma_f64 v[102:103], v[132:133], v[26:27], -v[0:1]
	s_waitcnt lgkmcnt(0)
	v_mul_f64 v[0:1], v[126:127], v[30:31]
	s_delay_alu instid0(VALU_DEP_1) | instskip(SKIP_1) | instid1(VALU_DEP_1)
	v_fma_f64 v[104:105], v[124:125], v[28:29], v[0:1]
	v_mul_f64 v[0:1], v[126:127], v[28:29]
	v_fma_f64 v[106:107], v[124:125], v[30:31], -v[0:1]
	v_add_f64 v[0:1], v[32:33], -v[12:13]
	s_delay_alu instid0(VALU_DEP_1) | instskip(SKIP_2) | instid1(VALU_DEP_1)
	v_add_f64 v[24:25], v[0:1], v[2:3]
	v_add_f64 v[0:1], v[34:35], -v[14:15]
	v_add_f64 v[2:3], v[38:39], -v[16:17]
	v_add_f64 v[26:27], v[0:1], v[2:3]
	ds_load_b128 v[0:3], v192
	ds_load_b128 v[4:7], v192 offset:1440
	s_waitcnt lgkmcnt(1)
	v_fma_f64 v[28:29], v[8:9], -0.5, v[0:1]
	v_add_f64 v[8:9], v[14:15], v[16:17]
	s_delay_alu instid0(VALU_DEP_1) | instskip(NEXT) | instid1(VALU_DEP_3)
	v_fma_f64 v[30:31], v[8:9], -0.5, v[2:3]
	v_fma_f64 v[8:9], v[56:57], s[10:11], v[28:29]
	v_fma_f64 v[28:29], v[56:57], s[12:13], v[28:29]
	s_delay_alu instid0(VALU_DEP_3) | instskip(SKIP_1) | instid1(VALU_DEP_4)
	v_fma_f64 v[10:11], v[108:109], s[12:13], v[30:31]
	v_fma_f64 v[30:31], v[108:109], s[10:11], v[30:31]
	;; [unrolled: 1-line block ×3, first 2 shown]
	s_delay_alu instid0(VALU_DEP_4) | instskip(NEXT) | instid1(VALU_DEP_4)
	v_fma_f64 v[28:29], v[58:59], s[2:3], v[28:29]
	v_fma_f64 v[10:11], v[110:111], s[2:3], v[10:11]
	s_delay_alu instid0(VALU_DEP_4) | instskip(NEXT) | instid1(VALU_DEP_4)
	v_fma_f64 v[30:31], v[110:111], s[0:1], v[30:31]
	v_fma_f64 v[8:9], v[24:25], s[14:15], v[8:9]
	s_delay_alu instid0(VALU_DEP_4) | instskip(SKIP_4) | instid1(VALU_DEP_4)
	v_fma_f64 v[24:25], v[24:25], s[14:15], v[28:29]
	v_add_f64 v[28:29], v[32:33], v[36:37]
	v_fma_f64 v[10:11], v[26:27], s[14:15], v[10:11]
	v_fma_f64 v[26:27], v[26:27], s[14:15], v[30:31]
	v_add_f64 v[30:31], v[34:35], v[38:39]
	v_fma_f64 v[28:29], v[28:29], -0.5, v[0:1]
	v_add_f64 v[0:1], v[0:1], v[32:33]
	v_add_f64 v[32:33], v[12:13], -v[32:33]
	s_delay_alu instid0(VALU_DEP_4) | instskip(SKIP_1) | instid1(VALU_DEP_4)
	v_fma_f64 v[30:31], v[30:31], -0.5, v[2:3]
	v_add_f64 v[2:3], v[2:3], v[34:35]
	v_add_f64 v[0:1], v[0:1], v[12:13]
	v_add_f64 v[12:13], v[14:15], -v[34:35]
	s_delay_alu instid0(VALU_DEP_4) | instskip(NEXT) | instid1(VALU_DEP_4)
	v_fma_f64 v[34:35], v[110:111], s[10:11], v[30:31]
	v_add_f64 v[2:3], v[2:3], v[14:15]
	v_add_f64 v[14:15], v[18:19], -v[36:37]
	v_add_f64 v[0:1], v[0:1], v[18:19]
	v_fma_f64 v[18:19], v[58:59], s[12:13], v[28:29]
	v_fma_f64 v[28:29], v[58:59], s[10:11], v[28:29]
	;; [unrolled: 1-line block ×3, first 2 shown]
	v_add_f64 v[58:59], v[46:47], -v[50:51]
	v_add_f64 v[110:111], v[44:45], -v[48:49]
	v_add_f64 v[2:3], v[2:3], v[16:17]
	v_add_f64 v[16:17], v[16:17], -v[38:39]
	v_add_f64 v[0:1], v[0:1], v[36:37]
	v_add_f64 v[32:33], v[32:33], v[14:15]
	v_fma_f64 v[14:15], v[108:109], s[2:3], v[34:35]
	v_add_f64 v[2:3], v[2:3], v[38:39]
	v_add_f64 v[36:37], v[12:13], v[16:17]
	v_fma_f64 v[12:13], v[56:57], s[0:1], v[18:19]
	v_fma_f64 v[16:17], v[56:57], s[2:3], v[28:29]
	v_fma_f64 v[18:19], v[108:109], s[0:1], v[30:31]
	v_add_f64 v[28:29], v[40:41], -v[44:45]
	v_add_f64 v[30:31], v[52:53], -v[48:49]
	;; [unrolled: 1-line block ×4, first 2 shown]
	v_fma_f64 v[14:15], v[36:37], s[14:15], v[14:15]
	v_fma_f64 v[12:13], v[32:33], s[14:15], v[12:13]
	;; [unrolled: 1-line block ×4, first 2 shown]
	v_add_f64 v[32:33], v[28:29], v[30:31]
	v_add_f64 v[28:29], v[42:43], -v[46:47]
	v_add_f64 v[30:31], v[54:55], -v[50:51]
	s_delay_alu instid0(VALU_DEP_1) | instskip(SKIP_2) | instid1(VALU_DEP_1)
	v_add_f64 v[34:35], v[28:29], v[30:31]
	v_add_f64 v[28:29], v[44:45], v[48:49]
	s_waitcnt lgkmcnt(0)
	v_fma_f64 v[36:37], v[28:29], -0.5, v[4:5]
	v_add_f64 v[28:29], v[46:47], v[50:51]
	s_delay_alu instid0(VALU_DEP_1) | instskip(NEXT) | instid1(VALU_DEP_3)
	v_fma_f64 v[38:39], v[28:29], -0.5, v[6:7]
	v_fma_f64 v[28:29], v[56:57], s[10:11], v[36:37]
	v_fma_f64 v[36:37], v[56:57], s[12:13], v[36:37]
	s_delay_alu instid0(VALU_DEP_3) | instskip(NEXT) | instid1(VALU_DEP_3)
	v_fma_f64 v[30:31], v[108:109], s[12:13], v[38:39]
	v_fma_f64 v[28:29], v[58:59], s[0:1], v[28:29]
	;; [unrolled: 1-line block ×3, first 2 shown]
	s_delay_alu instid0(VALU_DEP_4) | instskip(NEXT) | instid1(VALU_DEP_4)
	v_fma_f64 v[36:37], v[58:59], s[2:3], v[36:37]
	v_fma_f64 v[30:31], v[110:111], s[2:3], v[30:31]
	s_delay_alu instid0(VALU_DEP_4) | instskip(NEXT) | instid1(VALU_DEP_4)
	v_fma_f64 v[28:29], v[32:33], s[14:15], v[28:29]
	v_fma_f64 v[38:39], v[110:111], s[0:1], v[38:39]
	s_delay_alu instid0(VALU_DEP_4) | instskip(SKIP_2) | instid1(VALU_DEP_4)
	v_fma_f64 v[32:33], v[32:33], s[14:15], v[36:37]
	v_add_f64 v[36:37], v[40:41], v[52:53]
	v_fma_f64 v[30:31], v[34:35], s[14:15], v[30:31]
	v_fma_f64 v[34:35], v[34:35], s[14:15], v[38:39]
	v_add_f64 v[38:39], v[42:43], v[54:55]
	s_delay_alu instid0(VALU_DEP_4) | instskip(SKIP_2) | instid1(VALU_DEP_4)
	v_fma_f64 v[36:37], v[36:37], -0.5, v[4:5]
	v_add_f64 v[4:5], v[4:5], v[40:41]
	v_add_f64 v[40:41], v[44:45], -v[40:41]
	v_fma_f64 v[38:39], v[38:39], -0.5, v[6:7]
	v_add_f64 v[6:7], v[6:7], v[42:43]
	s_delay_alu instid0(VALU_DEP_4) | instskip(SKIP_2) | instid1(VALU_DEP_4)
	v_add_f64 v[4:5], v[4:5], v[44:45]
	v_add_f64 v[42:43], v[46:47], -v[42:43]
	v_add_f64 v[44:45], v[48:49], -v[52:53]
	v_add_f64 v[6:7], v[6:7], v[46:47]
	s_delay_alu instid0(VALU_DEP_4)
	v_add_f64 v[4:5], v[4:5], v[48:49]
	v_add_f64 v[46:47], v[50:51], -v[54:55]
	v_fma_f64 v[48:49], v[58:59], s[12:13], v[36:37]
	v_fma_f64 v[36:37], v[58:59], s[10:11], v[36:37]
	v_add_f64 v[40:41], v[40:41], v[44:45]
	v_add_f64 v[6:7], v[6:7], v[50:51]
	v_fma_f64 v[50:51], v[110:111], s[10:11], v[38:39]
	v_add_f64 v[42:43], v[42:43], v[46:47]
	v_fma_f64 v[44:45], v[56:57], s[0:1], v[48:49]
	v_fma_f64 v[46:47], v[56:57], s[2:3], v[36:37]
	;; [unrolled: 1-line block ×3, first 2 shown]
	v_add_f64 v[4:5], v[4:5], v[52:53]
	v_add_f64 v[52:53], v[64:65], v[68:69]
	;; [unrolled: 1-line block ×3, first 2 shown]
	v_fma_f64 v[48:49], v[108:109], s[2:3], v[50:51]
	v_fma_f64 v[36:37], v[40:41], s[14:15], v[44:45]
	;; [unrolled: 1-line block ×3, first 2 shown]
	v_add_f64 v[44:45], v[60:61], -v[64:65]
	v_add_f64 v[46:47], v[72:73], -v[68:69]
	v_fma_f64 v[50:51], v[108:109], s[0:1], v[38:39]
	v_fma_f64 v[38:39], v[42:43], s[14:15], v[48:49]
	s_delay_alu instid0(VALU_DEP_3) | instskip(SKIP_3) | instid1(VALU_DEP_2)
	v_add_f64 v[56:57], v[44:45], v[46:47]
	v_add_f64 v[44:45], v[62:63], -v[66:67]
	v_add_f64 v[46:47], v[74:75], -v[70:71]
	v_fma_f64 v[42:43], v[42:43], s[14:15], v[50:51]
	v_add_f64 v[58:59], v[44:45], v[46:47]
	ds_load_b128 v[44:47], v192 offset:2880
	ds_load_b128 v[48:51], v192 offset:4320
	s_waitcnt lgkmcnt(1)
	v_fma_f64 v[108:109], v[52:53], -0.5, v[44:45]
	v_add_f64 v[52:53], v[66:67], v[70:71]
	s_delay_alu instid0(VALU_DEP_1) | instskip(NEXT) | instid1(VALU_DEP_3)
	v_fma_f64 v[110:111], v[52:53], -0.5, v[46:47]
	v_fma_f64 v[52:53], v[112:113], s[10:11], v[108:109]
	v_fma_f64 v[108:109], v[112:113], s[12:13], v[108:109]
	s_delay_alu instid0(VALU_DEP_3) | instskip(SKIP_1) | instid1(VALU_DEP_4)
	v_fma_f64 v[54:55], v[116:117], s[12:13], v[110:111]
	v_fma_f64 v[110:111], v[116:117], s[10:11], v[110:111]
	;; [unrolled: 1-line block ×3, first 2 shown]
	s_delay_alu instid0(VALU_DEP_4) | instskip(NEXT) | instid1(VALU_DEP_4)
	v_fma_f64 v[108:109], v[114:115], s[2:3], v[108:109]
	v_fma_f64 v[54:55], v[118:119], s[2:3], v[54:55]
	s_delay_alu instid0(VALU_DEP_4) | instskip(NEXT) | instid1(VALU_DEP_4)
	v_fma_f64 v[110:111], v[118:119], s[0:1], v[110:111]
	v_fma_f64 v[52:53], v[56:57], s[14:15], v[52:53]
	s_delay_alu instid0(VALU_DEP_4) | instskip(SKIP_4) | instid1(VALU_DEP_4)
	v_fma_f64 v[56:57], v[56:57], s[14:15], v[108:109]
	v_add_f64 v[108:109], v[60:61], v[72:73]
	v_fma_f64 v[54:55], v[58:59], s[14:15], v[54:55]
	v_fma_f64 v[58:59], v[58:59], s[14:15], v[110:111]
	v_add_f64 v[110:111], v[62:63], v[74:75]
	v_fma_f64 v[108:109], v[108:109], -0.5, v[44:45]
	v_add_f64 v[44:45], v[44:45], v[60:61]
	v_add_f64 v[60:61], v[64:65], -v[60:61]
	s_delay_alu instid0(VALU_DEP_4) | instskip(SKIP_4) | instid1(VALU_DEP_4)
	v_fma_f64 v[110:111], v[110:111], -0.5, v[46:47]
	v_add_f64 v[46:47], v[46:47], v[62:63]
	v_add_f64 v[62:63], v[66:67], -v[62:63]
	v_add_f64 v[44:45], v[44:45], v[64:65]
	v_fma_f64 v[64:65], v[114:115], s[12:13], v[108:109]
	v_add_f64 v[46:47], v[46:47], v[66:67]
	v_fma_f64 v[66:67], v[114:115], s[10:11], v[108:109]
	s_delay_alu instid0(VALU_DEP_4)
	v_add_f64 v[44:45], v[44:45], v[68:69]
	v_add_f64 v[68:69], v[68:69], -v[72:73]
	v_add_f64 v[114:115], v[82:83], -v[86:87]
	v_add_f64 v[46:47], v[46:47], v[70:71]
	v_add_f64 v[70:71], v[70:71], -v[74:75]
	v_add_f64 v[44:45], v[44:45], v[72:73]
	v_fma_f64 v[72:73], v[118:119], s[10:11], v[110:111]
	v_add_f64 v[68:69], v[60:61], v[68:69]
	v_fma_f64 v[60:61], v[112:113], s[0:1], v[64:65]
	v_fma_f64 v[64:65], v[112:113], s[2:3], v[66:67]
	v_add_f64 v[112:113], v[78:79], -v[90:91]
	v_add_f64 v[46:47], v[46:47], v[74:75]
	v_fma_f64 v[74:75], v[118:119], s[12:13], v[110:111]
	v_add_f64 v[66:67], v[62:63], v[70:71]
	v_fma_f64 v[62:63], v[116:117], s[2:3], v[72:73]
	v_add_f64 v[118:119], v[80:81], -v[84:85]
	v_fma_f64 v[60:61], v[68:69], s[14:15], v[60:61]
	v_fma_f64 v[64:65], v[68:69], s[14:15], v[64:65]
	v_add_f64 v[68:69], v[76:77], -v[80:81]
	v_fma_f64 v[70:71], v[116:117], s[0:1], v[74:75]
	v_add_f64 v[116:117], v[76:77], -v[88:89]
	v_fma_f64 v[62:63], v[66:67], s[14:15], v[62:63]
	s_delay_alu instid0(VALU_DEP_3) | instskip(SKIP_1) | instid1(VALU_DEP_1)
	v_fma_f64 v[66:67], v[66:67], s[14:15], v[70:71]
	v_add_f64 v[70:71], v[88:89], -v[84:85]
	v_add_f64 v[72:73], v[68:69], v[70:71]
	v_add_f64 v[68:69], v[78:79], -v[82:83]
	v_add_f64 v[70:71], v[90:91], -v[86:87]
	s_delay_alu instid0(VALU_DEP_1) | instskip(SKIP_2) | instid1(VALU_DEP_1)
	v_add_f64 v[74:75], v[68:69], v[70:71]
	v_add_f64 v[68:69], v[80:81], v[84:85]
	s_waitcnt lgkmcnt(0)
	v_fma_f64 v[108:109], v[68:69], -0.5, v[48:49]
	v_add_f64 v[68:69], v[82:83], v[86:87]
	s_delay_alu instid0(VALU_DEP_1) | instskip(NEXT) | instid1(VALU_DEP_3)
	v_fma_f64 v[110:111], v[68:69], -0.5, v[50:51]
	v_fma_f64 v[68:69], v[112:113], s[10:11], v[108:109]
	v_fma_f64 v[108:109], v[112:113], s[12:13], v[108:109]
	s_delay_alu instid0(VALU_DEP_3) | instskip(NEXT) | instid1(VALU_DEP_3)
	v_fma_f64 v[70:71], v[116:117], s[12:13], v[110:111]
	v_fma_f64 v[68:69], v[114:115], s[0:1], v[68:69]
	;; [unrolled: 1-line block ×3, first 2 shown]
	s_delay_alu instid0(VALU_DEP_4) | instskip(NEXT) | instid1(VALU_DEP_4)
	v_fma_f64 v[108:109], v[114:115], s[2:3], v[108:109]
	v_fma_f64 v[70:71], v[118:119], s[2:3], v[70:71]
	s_delay_alu instid0(VALU_DEP_4) | instskip(NEXT) | instid1(VALU_DEP_4)
	v_fma_f64 v[68:69], v[72:73], s[14:15], v[68:69]
	v_fma_f64 v[110:111], v[118:119], s[0:1], v[110:111]
	s_delay_alu instid0(VALU_DEP_4) | instskip(SKIP_2) | instid1(VALU_DEP_4)
	v_fma_f64 v[72:73], v[72:73], s[14:15], v[108:109]
	v_add_f64 v[108:109], v[76:77], v[88:89]
	v_fma_f64 v[70:71], v[74:75], s[14:15], v[70:71]
	v_fma_f64 v[74:75], v[74:75], s[14:15], v[110:111]
	v_add_f64 v[110:111], v[78:79], v[90:91]
	s_delay_alu instid0(VALU_DEP_4) | instskip(SKIP_2) | instid1(VALU_DEP_4)
	v_fma_f64 v[108:109], v[108:109], -0.5, v[48:49]
	v_add_f64 v[48:49], v[48:49], v[76:77]
	v_add_f64 v[76:77], v[80:81], -v[76:77]
	v_fma_f64 v[110:111], v[110:111], -0.5, v[50:51]
	v_add_f64 v[50:51], v[50:51], v[78:79]
	s_delay_alu instid0(VALU_DEP_4)
	v_add_f64 v[48:49], v[48:49], v[80:81]
	v_fma_f64 v[80:81], v[114:115], s[12:13], v[108:109]
	v_fma_f64 v[108:109], v[114:115], s[10:11], v[108:109]
	v_add_f64 v[78:79], v[82:83], -v[78:79]
	v_add_f64 v[114:115], v[94:95], -v[106:107]
	v_add_f64 v[50:51], v[50:51], v[82:83]
	v_add_f64 v[48:49], v[48:49], v[84:85]
	v_add_f64 v[82:83], v[84:85], -v[88:89]
	v_add_f64 v[84:85], v[86:87], -v[90:91]
	s_delay_alu instid0(VALU_DEP_4) | instskip(NEXT) | instid1(VALU_DEP_4)
	v_add_f64 v[50:51], v[50:51], v[86:87]
	v_add_f64 v[48:49], v[48:49], v[88:89]
	v_fma_f64 v[86:87], v[118:119], s[10:11], v[110:111]
	v_fma_f64 v[88:89], v[118:119], s[12:13], v[110:111]
	v_add_f64 v[82:83], v[76:77], v[82:83]
	v_fma_f64 v[76:77], v[112:113], s[0:1], v[80:81]
	v_fma_f64 v[80:81], v[112:113], s[2:3], v[108:109]
	v_add_f64 v[84:85], v[78:79], v[84:85]
	v_add_f64 v[112:113], v[98:99], -v[102:103]
	v_add_f64 v[118:119], v[92:93], -v[104:105]
	v_add_f64 v[50:51], v[50:51], v[90:91]
	v_fma_f64 v[78:79], v[116:117], s[2:3], v[86:87]
	v_fma_f64 v[86:87], v[116:117], s[0:1], v[88:89]
	v_add_f64 v[116:117], v[96:97], -v[100:101]
	v_fma_f64 v[76:77], v[82:83], s[14:15], v[76:77]
	v_fma_f64 v[80:81], v[82:83], s[14:15], v[80:81]
	;; [unrolled: 1-line block ×4, first 2 shown]
	v_add_f64 v[84:85], v[96:97], -v[92:93]
	v_add_f64 v[86:87], v[100:101], -v[104:105]
	s_delay_alu instid0(VALU_DEP_1) | instskip(SKIP_2) | instid1(VALU_DEP_1)
	v_add_f64 v[88:89], v[84:85], v[86:87]
	v_add_f64 v[84:85], v[98:99], -v[94:95]
	v_add_f64 v[86:87], v[102:103], -v[106:107]
	v_add_f64 v[90:91], v[84:85], v[86:87]
	v_add_f64 v[84:85], v[92:93], v[104:105]
	s_delay_alu instid0(VALU_DEP_1) | instskip(SKIP_1) | instid1(VALU_DEP_1)
	v_fma_f64 v[108:109], v[84:85], -0.5, v[20:21]
	v_add_f64 v[84:85], v[94:95], v[106:107]
	v_fma_f64 v[110:111], v[84:85], -0.5, v[22:23]
	s_delay_alu instid0(VALU_DEP_3) | instskip(SKIP_1) | instid1(VALU_DEP_3)
	v_fma_f64 v[84:85], v[112:113], s[12:13], v[108:109]
	v_fma_f64 v[108:109], v[112:113], s[10:11], v[108:109]
	;; [unrolled: 1-line block ×4, first 2 shown]
	s_delay_alu instid0(VALU_DEP_4) | instskip(NEXT) | instid1(VALU_DEP_4)
	v_fma_f64 v[84:85], v[114:115], s[0:1], v[84:85]
	v_fma_f64 v[108:109], v[114:115], s[2:3], v[108:109]
	s_delay_alu instid0(VALU_DEP_4) | instskip(NEXT) | instid1(VALU_DEP_4)
	v_fma_f64 v[86:87], v[118:119], s[2:3], v[86:87]
	v_fma_f64 v[110:111], v[118:119], s[0:1], v[110:111]
	;; [unrolled: 3-line block ×3, first 2 shown]
	v_add_f64 v[108:109], v[96:97], v[100:101]
	v_fma_f64 v[86:87], v[90:91], s[14:15], v[86:87]
	v_fma_f64 v[90:91], v[90:91], s[14:15], v[110:111]
	v_add_f64 v[110:111], v[98:99], v[102:103]
	s_delay_alu instid0(VALU_DEP_4) | instskip(SKIP_2) | instid1(VALU_DEP_4)
	v_fma_f64 v[108:109], v[108:109], -0.5, v[20:21]
	v_add_f64 v[20:21], v[20:21], v[92:93]
	v_add_f64 v[92:93], v[92:93], -v[96:97]
	v_fma_f64 v[110:111], v[110:111], -0.5, v[22:23]
	v_add_f64 v[22:23], v[22:23], v[94:95]
	v_add_f64 v[94:95], v[94:95], -v[98:99]
	v_add_f64 v[20:21], v[20:21], v[96:97]
	v_add_f64 v[96:97], v[104:105], -v[100:101]
	s_delay_alu instid0(VALU_DEP_4) | instskip(SKIP_1) | instid1(VALU_DEP_4)
	v_add_f64 v[22:23], v[22:23], v[98:99]
	v_add_f64 v[98:99], v[106:107], -v[102:103]
	v_add_f64 v[20:21], v[20:21], v[100:101]
	v_fma_f64 v[100:101], v[114:115], s[10:11], v[108:109]
	v_add_f64 v[96:97], v[92:93], v[96:97]
	v_add_f64 v[22:23], v[22:23], v[102:103]
	v_fma_f64 v[102:103], v[114:115], s[12:13], v[108:109]
	v_add_f64 v[20:21], v[20:21], v[104:105]
	v_fma_f64 v[104:105], v[118:119], s[12:13], v[110:111]
	v_add_f64 v[98:99], v[94:95], v[98:99]
	v_fma_f64 v[92:93], v[112:113], s[0:1], v[100:101]
	v_add_f64 v[22:23], v[22:23], v[106:107]
	v_fma_f64 v[106:107], v[118:119], s[10:11], v[110:111]
	v_fma_f64 v[100:101], v[112:113], s[2:3], v[102:103]
	v_fma_f64 v[94:95], v[116:117], s[2:3], v[104:105]
	s_mov_b32 s2, 0x5a912e32
	v_fma_f64 v[92:93], v[96:97], s[14:15], v[92:93]
	s_mov_b32 s3, 0x3f3d208a
	s_delay_alu instid0(VALU_DEP_4) | instskip(NEXT) | instid1(VALU_DEP_4)
	v_fma_f64 v[102:103], v[116:117], s[0:1], v[106:107]
	v_fma_f64 v[96:97], v[96:97], s[14:15], v[100:101]
	s_delay_alu instid0(VALU_DEP_4) | instskip(SKIP_1) | instid1(VALU_DEP_3)
	v_fma_f64 v[94:95], v[98:99], s[14:15], v[94:95]
	s_mul_hi_u32 s1, s4, 0xe1
	v_fma_f64 v[98:99], v[98:99], s[14:15], v[102:103]
	ds_store_b128 v192, v[0:3]
	ds_store_b128 v192, v[4:7] offset:1440
	ds_store_b128 v192, v[12:15] offset:14400
	;; [unrolled: 1-line block ×24, first 2 shown]
	s_waitcnt lgkmcnt(0)
	s_barrier
	buffer_gl0_inv
	ds_load_b128 v[0:3], v192
	ds_load_b128 v[4:7], v192 offset:33840
	s_clause 0x1
	scratch_load_b128 v[28:31], off, off offset:100
	scratch_load_b128 v[32:35], off, off offset:84
	ds_load_b128 v[8:11], v192 offset:3600
	ds_load_b128 v[12:15], v192 offset:1440
	;; [unrolled: 1-line block ×3, first 2 shown]
	s_waitcnt vmcnt(1) lgkmcnt(4)
	v_mul_f64 v[20:21], v[30:31], v[2:3]
	v_mul_f64 v[22:23], v[30:31], v[0:1]
	s_waitcnt vmcnt(0) lgkmcnt(2)
	v_mul_f64 v[24:25], v[34:35], v[10:11]
	v_mul_f64 v[26:27], v[34:35], v[8:9]
	s_delay_alu instid0(VALU_DEP_4) | instskip(NEXT) | instid1(VALU_DEP_4)
	v_fma_f64 v[44:45], v[28:29], v[0:1], v[20:21]
	v_fma_f64 v[46:47], v[28:29], v[2:3], -v[22:23]
	ds_load_b128 v[0:3], v192 offset:5040
	ds_load_b128 v[20:23], v192 offset:10800
	scratch_load_b128 v[36:39], off, off offset:276 ; 16-byte Folded Reload
	v_fma_f64 v[48:49], v[32:33], v[8:9], v[24:25]
	v_fma_f64 v[50:51], v[32:33], v[10:11], -v[26:27]
	scratch_load_b128 v[32:35], off, off offset:260 ; 16-byte Folded Reload
	ds_load_b128 v[8:11], v192 offset:8640
	s_waitcnt vmcnt(1) lgkmcnt(3)
	v_mul_f64 v[28:29], v[38:39], v[18:19]
	v_mul_f64 v[30:31], v[38:39], v[16:17]
	s_waitcnt vmcnt(0) lgkmcnt(1)
	v_mul_f64 v[24:25], v[34:35], v[22:23]
	v_mul_f64 v[26:27], v[34:35], v[20:21]
	s_delay_alu instid0(VALU_DEP_4) | instskip(NEXT) | instid1(VALU_DEP_4)
	v_fma_f64 v[52:53], v[36:37], v[16:17], v[28:29]
	v_fma_f64 v[54:55], v[36:37], v[18:19], -v[30:31]
	ds_load_b128 v[16:19], v192 offset:14400
	v_fma_f64 v[56:57], v[32:33], v[20:21], v[24:25]
	v_fma_f64 v[58:59], v[32:33], v[22:23], -v[26:27]
	ds_load_b128 v[24:27], v192 offset:18000
	scratch_load_b128 v[32:35], off, off offset:388 ; 16-byte Folded Reload
	ds_load_b128 v[20:23], v192 offset:12240
	s_waitcnt vmcnt(0) lgkmcnt(2)
	v_mul_f64 v[28:29], v[34:35], v[18:19]
	v_mul_f64 v[30:31], v[34:35], v[16:17]
	s_delay_alu instid0(VALU_DEP_2) | instskip(NEXT) | instid1(VALU_DEP_2)
	v_fma_f64 v[60:61], v[32:33], v[16:17], v[28:29]
	v_fma_f64 v[62:63], v[32:33], v[18:19], -v[30:31]
	scratch_load_b128 v[32:35], off, off offset:244 ; 16-byte Folded Reload
	ds_load_b128 v[16:19], v192 offset:15840
	s_waitcnt vmcnt(0) lgkmcnt(2)
	v_mul_f64 v[28:29], v[34:35], v[26:27]
	v_mul_f64 v[30:31], v[34:35], v[24:25]
	s_delay_alu instid0(VALU_DEP_2) | instskip(NEXT) | instid1(VALU_DEP_2)
	v_fma_f64 v[64:65], v[32:33], v[24:25], v[28:29]
	v_fma_f64 v[66:67], v[32:33], v[26:27], -v[30:31]
	ds_load_b128 v[24:27], v192 offset:21600
	ds_load_b128 v[28:31], v192 offset:19440
	scratch_load_b128 v[34:37], off, off offset:180 ; 16-byte Folded Reload
	s_waitcnt vmcnt(0) lgkmcnt(1)
	v_mul_f64 v[32:33], v[36:37], v[26:27]
	s_delay_alu instid0(VALU_DEP_1) | instskip(SKIP_1) | instid1(VALU_DEP_1)
	v_fma_f64 v[68:69], v[34:35], v[24:25], v[32:33]
	v_mul_f64 v[24:25], v[36:37], v[24:25]
	v_fma_f64 v[70:71], v[34:35], v[26:27], -v[24:25]
	ds_load_b128 v[24:27], v192 offset:25200
	ds_load_b128 v[32:35], v192 offset:23040
	scratch_load_b128 v[38:41], off, off offset:164 ; 16-byte Folded Reload
	s_waitcnt vmcnt(0) lgkmcnt(1)
	v_mul_f64 v[36:37], v[40:41], v[26:27]
	s_delay_alu instid0(VALU_DEP_1) | instskip(SKIP_1) | instid1(VALU_DEP_1)
	v_fma_f64 v[72:73], v[38:39], v[24:25], v[36:37]
	v_mul_f64 v[24:25], v[40:41], v[24:25]
	;; [unrolled: 9-line block ×3, first 2 shown]
	v_fma_f64 v[78:79], v[78:79], v[26:27], -v[24:25]
	ds_load_b128 v[24:27], v192 offset:32400
	ds_load_b128 v[40:43], v192 offset:30240
	s_clause 0x1
	scratch_load_b128 v[82:85], off, off offset:132
	scratch_load_b128 v[86:89], off, off offset:116
	s_waitcnt vmcnt(1) lgkmcnt(1)
	v_mul_f64 v[80:81], v[84:85], v[26:27]
	s_delay_alu instid0(VALU_DEP_1) | instskip(SKIP_1) | instid1(VALU_DEP_1)
	v_fma_f64 v[80:81], v[82:83], v[24:25], v[80:81]
	v_mul_f64 v[24:25], v[84:85], v[24:25]
	v_fma_f64 v[82:83], v[82:83], v[26:27], -v[24:25]
	s_waitcnt vmcnt(0)
	v_mul_f64 v[24:25], v[88:89], v[14:15]
	scratch_load_b32 v26, off, off          ; 4-byte Folded Reload
	v_fma_f64 v[84:85], v[86:87], v[12:13], v[24:25]
	v_mul_f64 v[12:13], v[88:89], v[12:13]
	s_delay_alu instid0(VALU_DEP_1) | instskip(SKIP_3) | instid1(VALU_DEP_1)
	v_fma_f64 v[86:87], v[86:87], v[14:15], -v[12:13]
	scratch_load_b64 v[12:13], off, off offset:76 ; 8-byte Folded Reload
	s_waitcnt vmcnt(0)
	v_mov_b32_e32 v24, v12
	v_mad_u64_u32 v[12:13], null, s6, v24, 0
	s_delay_alu instid0(VALU_DEP_1) | instskip(NEXT) | instid1(VALU_DEP_1)
	v_mad_u64_u32 v[14:15], null, s7, v24, v[13:14]
	v_mov_b32_e32 v13, v14
	v_mad_u64_u32 v[14:15], null, s4, v26, 0
	s_delay_alu instid0(VALU_DEP_2) | instskip(NEXT) | instid1(VALU_DEP_2)
	v_lshlrev_b64 v[12:13], 4, v[12:13]
	v_mad_u64_u32 v[24:25], null, s5, v26, v[15:16]
	v_mul_f64 v[26:27], v[54:55], s[2:3]
	s_delay_alu instid0(VALU_DEP_2) | instskip(NEXT) | instid1(VALU_DEP_4)
	v_mov_b32_e32 v15, v24
	v_add_co_u32 v24, s0, s8, v12
	s_delay_alu instid0(VALU_DEP_1) | instskip(NEXT) | instid1(VALU_DEP_3)
	v_add_co_ci_u32_e64 v25, s0, s9, v13, s0
	v_lshlrev_b64 v[12:13], 4, v[14:15]
	v_mul_f64 v[14:15], v[46:47], s[2:3]
	v_mul_f64 v[46:47], v[58:59], s[2:3]
	s_delay_alu instid0(VALU_DEP_3) | instskip(NEXT) | instid1(VALU_DEP_1)
	v_add_co_u32 v88, s0, v24, v12
	v_add_co_ci_u32_e64 v89, s0, v25, v13, s0
	v_mul_f64 v[12:13], v[44:45], s[2:3]
	s_mul_i32 s0, s5, 0xe1
	v_mul_f64 v[24:25], v[52:53], s[2:3]
	s_add_i32 s1, s1, s0
	s_mul_i32 s0, s4, 0xe1
	v_mul_f64 v[44:45], v[56:57], s[2:3]
	s_lshl_b64 s[6:7], s[0:1], 4
	s_mul_i32 s1, s5, 0xfffff871
	v_add_co_u32 v52, s0, v88, s6
	s_delay_alu instid0(VALU_DEP_1)
	v_add_co_ci_u32_e64 v53, s0, s7, v89, s0
	global_store_b128 v[88:89], v[12:15], off
	v_mul_f64 v[12:13], v[48:49], s[2:3]
	v_mul_f64 v[14:15], v[50:51], s[2:3]
	scratch_load_b128 v[88:91], off, off offset:196 ; 16-byte Folded Reload
	v_mul_f64 v[48:49], v[60:61], s[2:3]
	v_mul_f64 v[50:51], v[62:63], s[2:3]
	global_store_b128 v[52:53], v[12:15], off
	v_mul_f64 v[12:13], v[64:65], s[2:3]
	v_mul_f64 v[14:15], v[66:67], s[2:3]
	scratch_load_b128 v[64:67], off, off offset:228 ; 16-byte Folded Reload
	v_add_co_u32 v52, s0, v52, s6
	s_delay_alu instid0(VALU_DEP_1) | instskip(SKIP_2) | instid1(VALU_DEP_1)
	v_add_co_ci_u32_e64 v53, s0, s7, v53, s0
	global_store_b128 v[52:53], v[24:27], off
	v_add_co_u32 v52, s0, v52, s6
	v_add_co_ci_u32_e64 v53, s0, s7, v53, s0
	v_mul_f64 v[24:25], v[68:69], s[2:3]
	v_mul_f64 v[26:27], v[70:71], s[2:3]
	global_store_b128 v[52:53], v[44:47], off
	v_add_co_u32 v52, s0, v52, s6
	s_delay_alu instid0(VALU_DEP_1) | instskip(SKIP_1) | instid1(VALU_DEP_3)
	v_add_co_ci_u32_e64 v53, s0, s7, v53, s0
	v_mul_f64 v[44:45], v[72:73], s[2:3]
	v_add_co_u32 v62, s0, v52, s6
	s_delay_alu instid0(VALU_DEP_1)
	v_add_co_ci_u32_e64 v63, s0, s7, v53, s0
	global_store_b128 v[52:53], v[48:51], off
	v_mul_f64 v[46:47], v[74:75], s[2:3]
	v_mul_f64 v[48:49], v[76:77], s[2:3]
	;; [unrolled: 1-line block ×3, first 2 shown]
	global_store_b128 v[62:63], v[12:15], off
	s_waitcnt vmcnt(1)
	v_mul_f64 v[58:59], v[90:91], v[10:11]
	v_mul_f64 v[60:61], v[90:91], v[8:9]
	scratch_load_b128 v[90:93], off, off offset:212 ; 16-byte Folded Reload
	v_fma_f64 v[58:59], v[88:89], v[8:9], v[58:59]
	v_fma_f64 v[60:61], v[88:89], v[10:11], -v[60:61]
	s_waitcnt vmcnt(1)
	v_mul_f64 v[54:55], v[66:67], v[2:3]
	v_mul_f64 v[56:57], v[66:67], v[0:1]
	s_delay_alu instid0(VALU_DEP_2) | instskip(NEXT) | instid1(VALU_DEP_2)
	v_fma_f64 v[54:55], v[64:65], v[0:1], v[54:55]
	v_fma_f64 v[56:57], v[64:65], v[2:3], -v[56:57]
	v_add_co_u32 v0, s0, v62, s6
	s_delay_alu instid0(VALU_DEP_1) | instskip(SKIP_3) | instid1(VALU_DEP_1)
	v_add_co_ci_u32_e64 v1, s0, s7, v63, s0
	v_mul_f64 v[2:3], v[82:83], s[2:3]
	global_store_b128 v[0:1], v[24:27], off
	v_add_co_u32 v0, s0, v0, s6
	v_add_co_ci_u32_e64 v1, s0, s7, v1, s0
	s_delay_alu instid0(VALU_DEP_2) | instskip(NEXT) | instid1(VALU_DEP_1)
	v_add_co_u32 v24, s0, v0, s6
	v_add_co_ci_u32_e64 v25, s0, s7, v1, s0
	s_waitcnt vmcnt(0)
	v_mul_f64 v[52:53], v[92:93], v[22:23]
	v_mul_f64 v[12:13], v[92:93], v[20:21]
	scratch_load_b128 v[92:95], off, off offset:292 ; 16-byte Folded Reload
	v_fma_f64 v[20:21], v[90:91], v[20:21], v[52:53]
	v_fma_f64 v[22:23], v[90:91], v[22:23], -v[12:13]
	v_mul_f64 v[12:13], v[58:59], s[2:3]
	s_waitcnt vmcnt(0)
	v_mul_f64 v[14:15], v[94:95], v[18:19]
	v_mul_f64 v[64:65], v[94:95], v[16:17]
	scratch_load_b128 v[94:97], off, off offset:308 ; 16-byte Folded Reload
	v_fma_f64 v[26:27], v[92:93], v[18:19], -v[64:65]
	v_mul_f64 v[18:19], v[22:23], s[2:3]
	s_delay_alu instid0(VALU_DEP_2)
	v_mul_f64 v[22:23], v[26:27], s[2:3]
	s_waitcnt vmcnt(0)
	v_mul_f64 v[66:67], v[96:97], v[30:31]
	v_mul_f64 v[68:69], v[96:97], v[28:29]
	scratch_load_b128 v[96:99], off, off offset:324 ; 16-byte Folded Reload
	v_fma_f64 v[28:29], v[94:95], v[28:29], v[66:67]
	v_fma_f64 v[30:31], v[94:95], v[30:31], -v[68:69]
	s_delay_alu instid0(VALU_DEP_1)
	v_mul_f64 v[26:27], v[30:31], s[2:3]
	s_waitcnt vmcnt(0)
	v_mul_f64 v[70:71], v[98:99], v[34:35]
	v_mul_f64 v[8:9], v[98:99], v[32:33]
	scratch_load_b128 v[98:101], off, off offset:340 ; 16-byte Folded Reload
	v_fma_f64 v[32:33], v[96:97], v[32:33], v[70:71]
	v_fma_f64 v[34:35], v[96:97], v[34:35], -v[8:9]
	v_mul_f64 v[8:9], v[54:55], s[2:3]
	s_delay_alu instid0(VALU_DEP_2)
	v_mul_f64 v[30:31], v[34:35], s[2:3]
	s_waitcnt vmcnt(0)
	v_mul_f64 v[10:11], v[100:101], v[38:39]
	v_mul_f64 v[62:63], v[100:101], v[36:37]
	scratch_load_b128 v[100:103], off, off offset:356 ; 16-byte Folded Reload
	v_fma_f64 v[36:37], v[98:99], v[36:37], v[10:11]
	v_fma_f64 v[38:39], v[98:99], v[38:39], -v[62:63]
	v_mul_f64 v[10:11], v[56:57], s[2:3]
	s_delay_alu instid0(VALU_DEP_2)
	v_mul_f64 v[34:35], v[38:39], s[2:3]
	s_waitcnt vmcnt(0) lgkmcnt(0)
	v_mul_f64 v[72:73], v[102:103], v[42:43]
	v_mul_f64 v[74:75], v[102:103], v[40:41]
	scratch_load_b128 v[102:105], off, off offset:372 ; 16-byte Folded Reload
	global_store_b128 v[0:1], v[44:47], off
	global_store_b128 v[24:25], v[48:51], off
	v_add_co_u32 v44, s0, v24, s6
	s_delay_alu instid0(VALU_DEP_1)
	v_add_co_ci_u32_e64 v45, s0, s7, v25, s0
	v_fma_f64 v[24:25], v[92:93], v[16:17], v[14:15]
	v_mul_f64 v[0:1], v[80:81], s[2:3]
	s_mul_hi_u32 s0, s4, 0xfffff871
	v_mul_f64 v[14:15], v[60:61], s[2:3]
	s_sub_i32 s0, s0, s4
	v_mul_f64 v[16:17], v[20:21], s[2:3]
	s_add_i32 s1, s0, s1
	s_mul_i32 s0, s4, 0xfffff871
	s_delay_alu instid0(SALU_CYCLE_1) | instskip(NEXT) | instid1(SALU_CYCLE_1)
	s_lshl_b64 s[4:5], s[0:1], 4
	v_add_co_u32 v50, s0, v44, s4
	s_delay_alu instid0(VALU_DEP_1) | instskip(NEXT) | instid1(VALU_DEP_2)
	v_add_co_ci_u32_e64 v51, s0, s5, v45, s0
	v_add_co_u32 v52, s0, v50, s6
	s_delay_alu instid0(VALU_DEP_1) | instskip(NEXT) | instid1(VALU_DEP_2)
	v_add_co_ci_u32_e64 v53, s0, s7, v51, s0
	v_add_co_u32 v54, s0, v52, s6
	s_delay_alu instid0(VALU_DEP_1)
	v_add_co_ci_u32_e64 v55, s0, s7, v53, s0
	v_fma_f64 v[40:41], v[100:101], v[40:41], v[72:73]
	v_fma_f64 v[42:43], v[100:101], v[42:43], -v[74:75]
	v_mul_f64 v[20:21], v[24:25], s[2:3]
	v_mul_f64 v[24:25], v[28:29], s[2:3]
	;; [unrolled: 1-line block ×4, first 2 shown]
	global_store_b128 v[44:45], v[0:3], off
	v_mul_f64 v[36:37], v[40:41], s[2:3]
	v_mul_f64 v[38:39], v[42:43], s[2:3]
	s_waitcnt vmcnt(0)
	v_mul_f64 v[76:77], v[104:105], v[6:7]
	v_mul_f64 v[78:79], v[104:105], v[4:5]
	s_delay_alu instid0(VALU_DEP_2) | instskip(NEXT) | instid1(VALU_DEP_2)
	v_fma_f64 v[46:47], v[102:103], v[4:5], v[76:77]
	v_fma_f64 v[48:49], v[102:103], v[6:7], -v[78:79]
	v_mul_f64 v[4:5], v[84:85], s[2:3]
	v_mul_f64 v[6:7], v[86:87], s[2:3]
	s_delay_alu instid0(VALU_DEP_4) | instskip(SKIP_1) | instid1(VALU_DEP_1)
	v_mul_f64 v[40:41], v[46:47], s[2:3]
	v_add_co_u32 v46, s0, v54, s6
	v_add_co_ci_u32_e64 v47, s0, s7, v55, s0
	v_mul_f64 v[42:43], v[48:49], s[2:3]
	s_delay_alu instid0(VALU_DEP_3) | instskip(NEXT) | instid1(VALU_DEP_1)
	v_add_co_u32 v0, s0, v46, s6
	v_add_co_ci_u32_e64 v1, s0, s7, v47, s0
	global_store_b128 v[50:51], v[4:7], off
	v_add_co_u32 v2, s0, v0, s6
	s_delay_alu instid0(VALU_DEP_1) | instskip(SKIP_2) | instid1(VALU_DEP_1)
	v_add_co_ci_u32_e64 v3, s0, s7, v1, s0
	global_store_b128 v[52:53], v[8:11], off
	v_add_co_u32 v4, s0, v2, s6
	v_add_co_ci_u32_e64 v5, s0, s7, v3, s0
	global_store_b128 v[54:55], v[12:15], off
	v_add_co_u32 v6, s0, v4, s6
	s_delay_alu instid0(VALU_DEP_1) | instskip(SKIP_2) | instid1(VALU_DEP_1)
	v_add_co_ci_u32_e64 v7, s0, s7, v5, s0
	global_store_b128 v[46:47], v[16:19], off
	v_add_co_u32 v8, s0, v6, s6
	v_add_co_ci_u32_e64 v9, s0, s7, v7, s0
	global_store_b128 v[0:1], v[20:23], off
	v_add_co_u32 v0, s0, v8, s6
	s_delay_alu instid0(VALU_DEP_1)
	v_add_co_ci_u32_e64 v1, s0, s7, v9, s0
	global_store_b128 v[2:3], v[24:27], off
	global_store_b128 v[4:5], v[28:31], off
	;; [unrolled: 1-line block ×5, first 2 shown]
	s_and_b32 exec_lo, exec_lo, vcc_lo
	s_cbranch_execz .LBB0_31
; %bb.30:
	scratch_load_b64 v[2:3], off, off offset:4 ; 8-byte Folded Reload
	s_waitcnt vmcnt(0)
	global_load_b128 v[2:5], v[2:3], off offset:2880
	ds_load_b128 v[6:9], v192 offset:2880
	ds_load_b128 v[10:13], v192 offset:35280
	s_waitcnt vmcnt(0) lgkmcnt(1)
	v_mul_f64 v[14:15], v[8:9], v[4:5]
	v_mul_f64 v[4:5], v[6:7], v[4:5]
	s_delay_alu instid0(VALU_DEP_2) | instskip(NEXT) | instid1(VALU_DEP_2)
	v_fma_f64 v[6:7], v[6:7], v[2:3], v[14:15]
	v_fma_f64 v[4:5], v[2:3], v[8:9], -v[4:5]
	v_add_co_u32 v8, vcc_lo, v0, s4
	v_add_co_ci_u32_e32 v9, vcc_lo, s5, v1, vcc_lo
	scratch_load_b64 v[0:1], off, off offset:68 ; 8-byte Folded Reload
	v_mul_f64 v[2:3], v[6:7], s[2:3]
	v_mul_f64 v[4:5], v[4:5], s[2:3]
	global_store_b128 v[8:9], v[2:5], off
	s_waitcnt vmcnt(0)
	global_load_b128 v[0:3], v[0:1], off offset:2384
	ds_load_b128 v[4:7], v192 offset:6480
	ds_load_b128 v[14:17], v192 offset:10080
	s_waitcnt vmcnt(0) lgkmcnt(1)
	v_mul_f64 v[18:19], v[6:7], v[2:3]
	v_mul_f64 v[2:3], v[4:5], v[2:3]
	s_delay_alu instid0(VALU_DEP_2) | instskip(NEXT) | instid1(VALU_DEP_2)
	v_fma_f64 v[4:5], v[4:5], v[0:1], v[18:19]
	v_fma_f64 v[2:3], v[0:1], v[6:7], -v[2:3]
	s_delay_alu instid0(VALU_DEP_2) | instskip(NEXT) | instid1(VALU_DEP_2)
	v_mul_f64 v[0:1], v[4:5], s[2:3]
	v_mul_f64 v[2:3], v[2:3], s[2:3]
	v_add_co_u32 v4, vcc_lo, v8, s6
	v_add_co_ci_u32_e32 v5, vcc_lo, s7, v9, vcc_lo
	s_delay_alu instid0(VALU_DEP_2) | instskip(NEXT) | instid1(VALU_DEP_2)
	v_add_co_u32 v8, vcc_lo, v4, s6
	v_add_co_ci_u32_e32 v9, vcc_lo, s7, v5, vcc_lo
	global_store_b128 v[4:5], v[0:3], off
	scratch_load_b64 v[0:1], off, off offset:60 ; 8-byte Folded Reload
	s_waitcnt vmcnt(0)
	global_load_b128 v[0:3], v[0:1], off offset:1888
	s_waitcnt vmcnt(0) lgkmcnt(0)
	v_mul_f64 v[6:7], v[16:17], v[2:3]
	v_mul_f64 v[2:3], v[14:15], v[2:3]
	s_delay_alu instid0(VALU_DEP_2) | instskip(NEXT) | instid1(VALU_DEP_2)
	v_fma_f64 v[6:7], v[14:15], v[0:1], v[6:7]
	v_fma_f64 v[2:3], v[0:1], v[16:17], -v[2:3]
	s_delay_alu instid0(VALU_DEP_2) | instskip(NEXT) | instid1(VALU_DEP_2)
	v_mul_f64 v[0:1], v[6:7], s[2:3]
	v_mul_f64 v[2:3], v[2:3], s[2:3]
	global_store_b128 v[8:9], v[0:3], off
	scratch_load_b64 v[0:1], off, off offset:52 ; 8-byte Folded Reload
	s_waitcnt vmcnt(0)
	global_load_b128 v[0:3], v[0:1], off offset:1392
	ds_load_b128 v[4:7], v192 offset:13680
	ds_load_b128 v[14:17], v192 offset:17280
	scratch_load_b64 v[20:21], off, off offset:36 ; 8-byte Folded Reload
	s_waitcnt vmcnt(1) lgkmcnt(1)
	v_mul_f64 v[18:19], v[6:7], v[2:3]
	v_mul_f64 v[2:3], v[4:5], v[2:3]
	s_delay_alu instid0(VALU_DEP_2) | instskip(NEXT) | instid1(VALU_DEP_2)
	v_fma_f64 v[4:5], v[4:5], v[0:1], v[18:19]
	v_fma_f64 v[2:3], v[0:1], v[6:7], -v[2:3]
	s_delay_alu instid0(VALU_DEP_2) | instskip(NEXT) | instid1(VALU_DEP_2)
	v_mul_f64 v[0:1], v[4:5], s[2:3]
	v_mul_f64 v[2:3], v[2:3], s[2:3]
	v_add_co_u32 v4, vcc_lo, v8, s6
	v_add_co_ci_u32_e32 v5, vcc_lo, s7, v9, vcc_lo
	s_delay_alu instid0(VALU_DEP_2) | instskip(NEXT) | instid1(VALU_DEP_2)
	v_add_co_u32 v8, vcc_lo, v4, s6
	v_add_co_ci_u32_e32 v9, vcc_lo, s7, v5, vcc_lo
	global_store_b128 v[4:5], v[0:3], off
	scratch_load_b64 v[0:1], off, off offset:44 ; 8-byte Folded Reload
	s_waitcnt vmcnt(0)
	global_load_b128 v[0:3], v[0:1], off offset:896
	s_waitcnt vmcnt(0) lgkmcnt(0)
	v_mul_f64 v[6:7], v[16:17], v[2:3]
	v_mul_f64 v[2:3], v[14:15], v[2:3]
	s_delay_alu instid0(VALU_DEP_2) | instskip(NEXT) | instid1(VALU_DEP_2)
	v_fma_f64 v[6:7], v[14:15], v[0:1], v[6:7]
	v_fma_f64 v[2:3], v[0:1], v[16:17], -v[2:3]
	s_delay_alu instid0(VALU_DEP_2) | instskip(NEXT) | instid1(VALU_DEP_2)
	v_mul_f64 v[0:1], v[6:7], s[2:3]
	v_mul_f64 v[2:3], v[2:3], s[2:3]
	global_store_b128 v[8:9], v[0:3], off
	global_load_b128 v[0:3], v[20:21], off offset:400
	ds_load_b128 v[4:7], v192 offset:20880
	ds_load_b128 v[14:17], v192 offset:24480
	s_waitcnt vmcnt(0) lgkmcnt(1)
	v_mul_f64 v[18:19], v[6:7], v[2:3]
	v_mul_f64 v[2:3], v[4:5], v[2:3]
	s_delay_alu instid0(VALU_DEP_2) | instskip(NEXT) | instid1(VALU_DEP_2)
	v_fma_f64 v[4:5], v[4:5], v[0:1], v[18:19]
	v_fma_f64 v[2:3], v[0:1], v[6:7], -v[2:3]
	s_delay_alu instid0(VALU_DEP_2) | instskip(NEXT) | instid1(VALU_DEP_2)
	v_mul_f64 v[0:1], v[4:5], s[2:3]
	v_mul_f64 v[2:3], v[2:3], s[2:3]
	v_add_co_u32 v4, vcc_lo, v8, s6
	v_add_co_ci_u32_e32 v5, vcc_lo, s7, v9, vcc_lo
	s_delay_alu instid0(VALU_DEP_2) | instskip(NEXT) | instid1(VALU_DEP_2)
	v_add_co_u32 v8, vcc_lo, v4, s6
	v_add_co_ci_u32_e32 v9, vcc_lo, s7, v5, vcc_lo
	global_store_b128 v[4:5], v[0:3], off
	global_load_b128 v[0:3], v[20:21], off offset:4000
	s_waitcnt vmcnt(0) lgkmcnt(0)
	v_mul_f64 v[6:7], v[16:17], v[2:3]
	v_mul_f64 v[2:3], v[14:15], v[2:3]
	s_delay_alu instid0(VALU_DEP_2) | instskip(NEXT) | instid1(VALU_DEP_2)
	v_fma_f64 v[6:7], v[14:15], v[0:1], v[6:7]
	v_fma_f64 v[2:3], v[0:1], v[16:17], -v[2:3]
	s_delay_alu instid0(VALU_DEP_2) | instskip(NEXT) | instid1(VALU_DEP_2)
	v_mul_f64 v[0:1], v[6:7], s[2:3]
	v_mul_f64 v[2:3], v[2:3], s[2:3]
	global_store_b128 v[8:9], v[0:3], off
	scratch_load_b64 v[0:1], off, off offset:28 ; 8-byte Folded Reload
	s_waitcnt vmcnt(0)
	global_load_b128 v[0:3], v[0:1], off offset:3504
	ds_load_b128 v[4:7], v192 offset:28080
	ds_load_b128 v[14:17], v192 offset:31680
	s_waitcnt vmcnt(0) lgkmcnt(1)
	v_mul_f64 v[18:19], v[6:7], v[2:3]
	v_mul_f64 v[2:3], v[4:5], v[2:3]
	s_delay_alu instid0(VALU_DEP_2) | instskip(NEXT) | instid1(VALU_DEP_2)
	v_fma_f64 v[4:5], v[4:5], v[0:1], v[18:19]
	v_fma_f64 v[2:3], v[0:1], v[6:7], -v[2:3]
	s_delay_alu instid0(VALU_DEP_2) | instskip(NEXT) | instid1(VALU_DEP_2)
	v_mul_f64 v[0:1], v[4:5], s[2:3]
	v_mul_f64 v[2:3], v[2:3], s[2:3]
	v_add_co_u32 v4, vcc_lo, v8, s6
	v_add_co_ci_u32_e32 v5, vcc_lo, s7, v9, vcc_lo
	global_store_b128 v[4:5], v[0:3], off
	scratch_load_b64 v[0:1], off, off offset:20 ; 8-byte Folded Reload
	v_add_co_u32 v4, vcc_lo, v4, s6
	v_add_co_ci_u32_e32 v5, vcc_lo, s7, v5, vcc_lo
	s_waitcnt vmcnt(0)
	global_load_b128 v[0:3], v[0:1], off offset:3008
	s_waitcnt vmcnt(0) lgkmcnt(0)
	v_mul_f64 v[6:7], v[16:17], v[2:3]
	v_mul_f64 v[2:3], v[14:15], v[2:3]
	s_delay_alu instid0(VALU_DEP_2) | instskip(NEXT) | instid1(VALU_DEP_2)
	v_fma_f64 v[6:7], v[14:15], v[0:1], v[6:7]
	v_fma_f64 v[2:3], v[0:1], v[16:17], -v[2:3]
	s_delay_alu instid0(VALU_DEP_2) | instskip(NEXT) | instid1(VALU_DEP_2)
	v_mul_f64 v[0:1], v[6:7], s[2:3]
	v_mul_f64 v[2:3], v[2:3], s[2:3]
	global_store_b128 v[4:5], v[0:3], off
	scratch_load_b64 v[0:1], off, off offset:12 ; 8-byte Folded Reload
	v_add_co_u32 v4, vcc_lo, v4, s6
	v_add_co_ci_u32_e32 v5, vcc_lo, s7, v5, vcc_lo
	s_waitcnt vmcnt(0)
	global_load_b128 v[0:3], v[0:1], off offset:2512
	s_waitcnt vmcnt(0)
	v_mul_f64 v[6:7], v[12:13], v[2:3]
	v_mul_f64 v[2:3], v[10:11], v[2:3]
	s_delay_alu instid0(VALU_DEP_2) | instskip(NEXT) | instid1(VALU_DEP_2)
	v_fma_f64 v[6:7], v[10:11], v[0:1], v[6:7]
	v_fma_f64 v[2:3], v[0:1], v[12:13], -v[2:3]
	s_delay_alu instid0(VALU_DEP_2) | instskip(NEXT) | instid1(VALU_DEP_2)
	v_mul_f64 v[0:1], v[6:7], s[2:3]
	v_mul_f64 v[2:3], v[2:3], s[2:3]
	global_store_b128 v[4:5], v[0:3], off
.LBB0_31:
	s_nop 0
	s_sendmsg sendmsg(MSG_DEALLOC_VGPRS)
	s_endpgm
	.section	.rodata,"a",@progbits
	.p2align	6, 0x0
	.amdhsa_kernel bluestein_single_fwd_len2250_dim1_dp_op_CI_CI
		.amdhsa_group_segment_fixed_size 36000
		.amdhsa_private_segment_fixed_size 1492
		.amdhsa_kernarg_size 104
		.amdhsa_user_sgpr_count 15
		.amdhsa_user_sgpr_dispatch_ptr 0
		.amdhsa_user_sgpr_queue_ptr 0
		.amdhsa_user_sgpr_kernarg_segment_ptr 1
		.amdhsa_user_sgpr_dispatch_id 0
		.amdhsa_user_sgpr_private_segment_size 0
		.amdhsa_wavefront_size32 1
		.amdhsa_uses_dynamic_stack 0
		.amdhsa_enable_private_segment 1
		.amdhsa_system_sgpr_workgroup_id_x 1
		.amdhsa_system_sgpr_workgroup_id_y 0
		.amdhsa_system_sgpr_workgroup_id_z 0
		.amdhsa_system_sgpr_workgroup_info 0
		.amdhsa_system_vgpr_workitem_id 0
		.amdhsa_next_free_vgpr 256
		.amdhsa_next_free_sgpr 24
		.amdhsa_reserve_vcc 1
		.amdhsa_float_round_mode_32 0
		.amdhsa_float_round_mode_16_64 0
		.amdhsa_float_denorm_mode_32 3
		.amdhsa_float_denorm_mode_16_64 3
		.amdhsa_dx10_clamp 1
		.amdhsa_ieee_mode 1
		.amdhsa_fp16_overflow 0
		.amdhsa_workgroup_processor_mode 1
		.amdhsa_memory_ordered 1
		.amdhsa_forward_progress 0
		.amdhsa_shared_vgpr_count 0
		.amdhsa_exception_fp_ieee_invalid_op 0
		.amdhsa_exception_fp_denorm_src 0
		.amdhsa_exception_fp_ieee_div_zero 0
		.amdhsa_exception_fp_ieee_overflow 0
		.amdhsa_exception_fp_ieee_underflow 0
		.amdhsa_exception_fp_ieee_inexact 0
		.amdhsa_exception_int_div_zero 0
	.end_amdhsa_kernel
	.text
.Lfunc_end0:
	.size	bluestein_single_fwd_len2250_dim1_dp_op_CI_CI, .Lfunc_end0-bluestein_single_fwd_len2250_dim1_dp_op_CI_CI
                                        ; -- End function
	.section	.AMDGPU.csdata,"",@progbits
; Kernel info:
; codeLenInByte = 46324
; NumSgprs: 26
; NumVgprs: 256
; ScratchSize: 1492
; MemoryBound: 0
; FloatMode: 240
; IeeeMode: 1
; LDSByteSize: 36000 bytes/workgroup (compile time only)
; SGPRBlocks: 3
; VGPRBlocks: 31
; NumSGPRsForWavesPerEU: 26
; NumVGPRsForWavesPerEU: 256
; Occupancy: 3
; WaveLimiterHint : 1
; COMPUTE_PGM_RSRC2:SCRATCH_EN: 1
; COMPUTE_PGM_RSRC2:USER_SGPR: 15
; COMPUTE_PGM_RSRC2:TRAP_HANDLER: 0
; COMPUTE_PGM_RSRC2:TGID_X_EN: 1
; COMPUTE_PGM_RSRC2:TGID_Y_EN: 0
; COMPUTE_PGM_RSRC2:TGID_Z_EN: 0
; COMPUTE_PGM_RSRC2:TIDIG_COMP_CNT: 0
	.text
	.p2alignl 7, 3214868480
	.fill 96, 4, 3214868480
	.type	__hip_cuid_72f5798fa16ebfe3,@object ; @__hip_cuid_72f5798fa16ebfe3
	.section	.bss,"aw",@nobits
	.globl	__hip_cuid_72f5798fa16ebfe3
__hip_cuid_72f5798fa16ebfe3:
	.byte	0                               ; 0x0
	.size	__hip_cuid_72f5798fa16ebfe3, 1

	.ident	"AMD clang version 19.0.0git (https://github.com/RadeonOpenCompute/llvm-project roc-6.4.0 25133 c7fe45cf4b819c5991fe208aaa96edf142730f1d)"
	.section	".note.GNU-stack","",@progbits
	.addrsig
	.addrsig_sym __hip_cuid_72f5798fa16ebfe3
	.amdgpu_metadata
---
amdhsa.kernels:
  - .args:
      - .actual_access:  read_only
        .address_space:  global
        .offset:         0
        .size:           8
        .value_kind:     global_buffer
      - .actual_access:  read_only
        .address_space:  global
        .offset:         8
        .size:           8
        .value_kind:     global_buffer
      - .actual_access:  read_only
        .address_space:  global
        .offset:         16
        .size:           8
        .value_kind:     global_buffer
      - .actual_access:  read_only
        .address_space:  global
        .offset:         24
        .size:           8
        .value_kind:     global_buffer
      - .actual_access:  read_only
        .address_space:  global
        .offset:         32
        .size:           8
        .value_kind:     global_buffer
      - .offset:         40
        .size:           8
        .value_kind:     by_value
      - .address_space:  global
        .offset:         48
        .size:           8
        .value_kind:     global_buffer
      - .address_space:  global
        .offset:         56
        .size:           8
        .value_kind:     global_buffer
      - .address_space:  global
        .offset:         64
        .size:           8
        .value_kind:     global_buffer
      - .address_space:  global
        .offset:         72
        .size:           8
        .value_kind:     global_buffer
      - .offset:         80
        .size:           4
        .value_kind:     by_value
      - .address_space:  global
        .offset:         88
        .size:           8
        .value_kind:     global_buffer
      - .address_space:  global
        .offset:         96
        .size:           8
        .value_kind:     global_buffer
    .group_segment_fixed_size: 36000
    .kernarg_segment_align: 8
    .kernarg_segment_size: 104
    .language:       OpenCL C
    .language_version:
      - 2
      - 0
    .max_flat_workgroup_size: 90
    .name:           bluestein_single_fwd_len2250_dim1_dp_op_CI_CI
    .private_segment_fixed_size: 1492
    .sgpr_count:     26
    .sgpr_spill_count: 0
    .symbol:         bluestein_single_fwd_len2250_dim1_dp_op_CI_CI.kd
    .uniform_work_group_size: 1
    .uses_dynamic_stack: false
    .vgpr_count:     256
    .vgpr_spill_count: 378
    .wavefront_size: 32
    .workgroup_processor_mode: 1
amdhsa.target:   amdgcn-amd-amdhsa--gfx1100
amdhsa.version:
  - 1
  - 2
...

	.end_amdgpu_metadata
